;; amdgpu-corpus repo=ROCm/rocFFT kind=compiled arch=gfx1030 opt=O3
	.text
	.amdgcn_target "amdgcn-amd-amdhsa--gfx1030"
	.amdhsa_code_object_version 6
	.protected	fft_rtc_back_len1078_factors_2_11_7_7_wgs_231_tpt_77_halfLds_half_op_CI_CI_sbrr_dirReg ; -- Begin function fft_rtc_back_len1078_factors_2_11_7_7_wgs_231_tpt_77_halfLds_half_op_CI_CI_sbrr_dirReg
	.globl	fft_rtc_back_len1078_factors_2_11_7_7_wgs_231_tpt_77_halfLds_half_op_CI_CI_sbrr_dirReg
	.p2align	8
	.type	fft_rtc_back_len1078_factors_2_11_7_7_wgs_231_tpt_77_halfLds_half_op_CI_CI_sbrr_dirReg,@function
fft_rtc_back_len1078_factors_2_11_7_7_wgs_231_tpt_77_halfLds_half_op_CI_CI_sbrr_dirReg: ; @fft_rtc_back_len1078_factors_2_11_7_7_wgs_231_tpt_77_halfLds_half_op_CI_CI_sbrr_dirReg
; %bb.0:
	s_clause 0x1
	s_load_dwordx4 s[16:19], s[4:5], 0x18
	s_load_dwordx4 s[12:15], s[4:5], 0x0
	v_mul_u32_u24_e32 v1, 0x354, v0
	v_mov_b32_e32 v5, 0
	v_mov_b32_e32 v3, 0
	v_mov_b32_e32 v4, 0
	s_load_dwordx4 s[8:11], s[4:5], 0x58
	s_waitcnt lgkmcnt(0)
	s_load_dwordx2 s[20:21], s[16:17], 0x0
	s_load_dwordx2 s[2:3], s[18:19], 0x0
	v_lshrrev_b32_e32 v1, 16, v1
	v_cmp_lt_u64_e64 s0, s[14:15], 2
	v_mov_b32_e32 v17, v4
	v_mov_b32_e32 v16, v3
	v_mad_u64_u32 v[1:2], null, s6, 3, v[1:2]
	v_mov_b32_e32 v2, v5
	s_and_b32 vcc_lo, exec_lo, s0
	v_mov_b32_e32 v19, v2
	v_mov_b32_e32 v18, v1
	s_cbranch_vccnz .LBB0_8
; %bb.1:
	s_load_dwordx2 s[0:1], s[4:5], 0x10
	v_mov_b32_e32 v3, 0
	v_mov_b32_e32 v4, 0
	s_add_u32 s6, s18, 8
	v_mov_b32_e32 v8, v2
	s_addc_u32 s7, s19, 0
	v_mov_b32_e32 v7, v1
	v_mov_b32_e32 v17, v4
	s_add_u32 s22, s16, 8
	v_mov_b32_e32 v16, v3
	s_addc_u32 s23, s17, 0
	s_mov_b64 s[26:27], 1
	s_waitcnt lgkmcnt(0)
	s_add_u32 s24, s0, 8
	s_addc_u32 s25, s1, 0
.LBB0_2:                                ; =>This Inner Loop Header: Depth=1
	s_load_dwordx2 s[28:29], s[24:25], 0x0
                                        ; implicit-def: $vgpr18_vgpr19
	s_mov_b32 s0, exec_lo
	s_waitcnt lgkmcnt(0)
	v_or_b32_e32 v6, s29, v8
	v_cmpx_ne_u64_e32 0, v[5:6]
	s_xor_b32 s1, exec_lo, s0
	s_cbranch_execz .LBB0_4
; %bb.3:                                ;   in Loop: Header=BB0_2 Depth=1
	v_cvt_f32_u32_e32 v2, s28
	v_cvt_f32_u32_e32 v6, s29
	s_sub_u32 s0, 0, s28
	s_subb_u32 s30, 0, s29
	v_fmac_f32_e32 v2, 0x4f800000, v6
	v_rcp_f32_e32 v2, v2
	v_mul_f32_e32 v2, 0x5f7ffffc, v2
	v_mul_f32_e32 v6, 0x2f800000, v2
	v_trunc_f32_e32 v6, v6
	v_fmac_f32_e32 v2, 0xcf800000, v6
	v_cvt_u32_f32_e32 v6, v6
	v_cvt_u32_f32_e32 v2, v2
	v_mul_lo_u32 v9, s0, v6
	v_mul_hi_u32 v10, s0, v2
	v_mul_lo_u32 v11, s30, v2
	v_add_nc_u32_e32 v9, v10, v9
	v_mul_lo_u32 v10, s0, v2
	v_add_nc_u32_e32 v9, v9, v11
	v_mul_hi_u32 v11, v2, v10
	v_mul_lo_u32 v12, v2, v9
	v_mul_hi_u32 v13, v2, v9
	v_mul_hi_u32 v14, v6, v10
	v_mul_lo_u32 v10, v6, v10
	v_mul_hi_u32 v15, v6, v9
	v_mul_lo_u32 v9, v6, v9
	v_add_co_u32 v11, vcc_lo, v11, v12
	v_add_co_ci_u32_e32 v12, vcc_lo, 0, v13, vcc_lo
	v_add_co_u32 v10, vcc_lo, v11, v10
	v_add_co_ci_u32_e32 v10, vcc_lo, v12, v14, vcc_lo
	v_add_co_ci_u32_e32 v11, vcc_lo, 0, v15, vcc_lo
	v_add_co_u32 v9, vcc_lo, v10, v9
	v_add_co_ci_u32_e32 v10, vcc_lo, 0, v11, vcc_lo
	v_add_co_u32 v2, vcc_lo, v2, v9
	v_add_co_ci_u32_e32 v6, vcc_lo, v6, v10, vcc_lo
	v_mul_hi_u32 v9, s0, v2
	v_mul_lo_u32 v11, s30, v2
	v_mul_lo_u32 v10, s0, v6
	v_add_nc_u32_e32 v9, v9, v10
	v_mul_lo_u32 v10, s0, v2
	v_add_nc_u32_e32 v9, v9, v11
	v_mul_hi_u32 v11, v2, v10
	v_mul_lo_u32 v12, v2, v9
	v_mul_hi_u32 v13, v2, v9
	v_mul_hi_u32 v14, v6, v10
	v_mul_lo_u32 v10, v6, v10
	v_mul_hi_u32 v15, v6, v9
	v_mul_lo_u32 v9, v6, v9
	v_add_co_u32 v11, vcc_lo, v11, v12
	v_add_co_ci_u32_e32 v12, vcc_lo, 0, v13, vcc_lo
	v_add_co_u32 v10, vcc_lo, v11, v10
	v_add_co_ci_u32_e32 v10, vcc_lo, v12, v14, vcc_lo
	v_add_co_ci_u32_e32 v11, vcc_lo, 0, v15, vcc_lo
	v_add_co_u32 v9, vcc_lo, v10, v9
	v_add_co_ci_u32_e32 v10, vcc_lo, 0, v11, vcc_lo
	v_add_co_u32 v2, vcc_lo, v2, v9
	v_add_co_ci_u32_e32 v6, vcc_lo, v6, v10, vcc_lo
	v_mul_hi_u32 v15, v7, v2
	v_mad_u64_u32 v[11:12], null, v8, v2, 0
	v_mad_u64_u32 v[9:10], null, v7, v6, 0
	v_mad_u64_u32 v[13:14], null, v8, v6, 0
	v_add_co_u32 v2, vcc_lo, v15, v9
	v_add_co_ci_u32_e32 v6, vcc_lo, 0, v10, vcc_lo
	v_add_co_u32 v2, vcc_lo, v2, v11
	v_add_co_ci_u32_e32 v2, vcc_lo, v6, v12, vcc_lo
	v_add_co_ci_u32_e32 v6, vcc_lo, 0, v14, vcc_lo
	v_add_co_u32 v2, vcc_lo, v2, v13
	v_add_co_ci_u32_e32 v6, vcc_lo, 0, v6, vcc_lo
	v_mul_lo_u32 v11, s29, v2
	v_mad_u64_u32 v[9:10], null, s28, v2, 0
	v_mul_lo_u32 v12, s28, v6
	v_sub_co_u32 v9, vcc_lo, v7, v9
	v_add3_u32 v10, v10, v12, v11
	v_sub_nc_u32_e32 v11, v8, v10
	v_subrev_co_ci_u32_e64 v11, s0, s29, v11, vcc_lo
	v_add_co_u32 v12, s0, v2, 2
	v_add_co_ci_u32_e64 v13, s0, 0, v6, s0
	v_sub_co_u32 v14, s0, v9, s28
	v_sub_co_ci_u32_e32 v10, vcc_lo, v8, v10, vcc_lo
	v_subrev_co_ci_u32_e64 v11, s0, 0, v11, s0
	v_cmp_le_u32_e32 vcc_lo, s28, v14
	v_cmp_eq_u32_e64 s0, s29, v10
	v_cndmask_b32_e64 v14, 0, -1, vcc_lo
	v_cmp_le_u32_e32 vcc_lo, s29, v11
	v_cndmask_b32_e64 v15, 0, -1, vcc_lo
	v_cmp_le_u32_e32 vcc_lo, s28, v9
	;; [unrolled: 2-line block ×3, first 2 shown]
	v_cndmask_b32_e64 v18, 0, -1, vcc_lo
	v_cmp_eq_u32_e32 vcc_lo, s29, v11
	v_cndmask_b32_e64 v9, v18, v9, s0
	v_cndmask_b32_e32 v11, v15, v14, vcc_lo
	v_add_co_u32 v14, vcc_lo, v2, 1
	v_add_co_ci_u32_e32 v15, vcc_lo, 0, v6, vcc_lo
	v_cmp_ne_u32_e32 vcc_lo, 0, v11
	v_cndmask_b32_e32 v10, v15, v13, vcc_lo
	v_cndmask_b32_e32 v11, v14, v12, vcc_lo
	v_cmp_ne_u32_e32 vcc_lo, 0, v9
	v_cndmask_b32_e32 v19, v6, v10, vcc_lo
	v_cndmask_b32_e32 v18, v2, v11, vcc_lo
.LBB0_4:                                ;   in Loop: Header=BB0_2 Depth=1
	s_andn2_saveexec_b32 s0, s1
	s_cbranch_execz .LBB0_6
; %bb.5:                                ;   in Loop: Header=BB0_2 Depth=1
	v_cvt_f32_u32_e32 v2, s28
	s_sub_i32 s1, 0, s28
	v_mov_b32_e32 v19, v5
	v_rcp_iflag_f32_e32 v2, v2
	v_mul_f32_e32 v2, 0x4f7ffffe, v2
	v_cvt_u32_f32_e32 v2, v2
	v_mul_lo_u32 v6, s1, v2
	v_mul_hi_u32 v6, v2, v6
	v_add_nc_u32_e32 v2, v2, v6
	v_mul_hi_u32 v2, v7, v2
	v_mul_lo_u32 v6, v2, s28
	v_add_nc_u32_e32 v9, 1, v2
	v_sub_nc_u32_e32 v6, v7, v6
	v_subrev_nc_u32_e32 v10, s28, v6
	v_cmp_le_u32_e32 vcc_lo, s28, v6
	v_cndmask_b32_e32 v6, v6, v10, vcc_lo
	v_cndmask_b32_e32 v2, v2, v9, vcc_lo
	v_cmp_le_u32_e32 vcc_lo, s28, v6
	v_add_nc_u32_e32 v9, 1, v2
	v_cndmask_b32_e32 v18, v2, v9, vcc_lo
.LBB0_6:                                ;   in Loop: Header=BB0_2 Depth=1
	s_or_b32 exec_lo, exec_lo, s0
	v_mul_lo_u32 v2, v19, s28
	v_mul_lo_u32 v6, v18, s29
	s_load_dwordx2 s[0:1], s[22:23], 0x0
	v_mad_u64_u32 v[9:10], null, v18, s28, 0
	s_load_dwordx2 s[28:29], s[6:7], 0x0
	s_add_u32 s26, s26, 1
	s_addc_u32 s27, s27, 0
	s_add_u32 s6, s6, 8
	s_addc_u32 s7, s7, 0
	s_add_u32 s22, s22, 8
	v_add3_u32 v2, v10, v6, v2
	v_sub_co_u32 v6, vcc_lo, v7, v9
	s_addc_u32 s23, s23, 0
	s_add_u32 s24, s24, 8
	v_sub_co_ci_u32_e32 v2, vcc_lo, v8, v2, vcc_lo
	s_addc_u32 s25, s25, 0
	s_waitcnt lgkmcnt(0)
	v_mul_lo_u32 v7, s0, v2
	v_mul_lo_u32 v8, s1, v6
	v_mad_u64_u32 v[3:4], null, s0, v6, v[3:4]
	v_mul_lo_u32 v2, s28, v2
	v_mul_lo_u32 v9, s29, v6
	v_mad_u64_u32 v[16:17], null, s28, v6, v[16:17]
	v_cmp_ge_u64_e64 s0, s[26:27], s[14:15]
	v_add3_u32 v4, v8, v4, v7
	v_add3_u32 v17, v9, v17, v2
	s_and_b32 vcc_lo, exec_lo, s0
	s_cbranch_vccnz .LBB0_8
; %bb.7:                                ;   in Loop: Header=BB0_2 Depth=1
	v_mov_b32_e32 v7, v18
	v_mov_b32_e32 v8, v19
	s_branch .LBB0_2
.LBB0_8:
	s_load_dwordx2 s[0:1], s[4:5], 0x28
	v_mul_hi_u32 v33, 0x3531ded, v0
	s_lshl_b64 s[6:7], s[14:15], 3
                                        ; implicit-def: $sgpr14
                                        ; implicit-def: $vgpr24
                                        ; implicit-def: $vgpr25
                                        ; implicit-def: $vgpr29
                                        ; implicit-def: $vgpr30
                                        ; implicit-def: $vgpr31
	s_add_u32 s4, s18, s6
	s_addc_u32 s5, s19, s7
	s_waitcnt lgkmcnt(0)
	v_cmp_gt_u64_e32 vcc_lo, s[0:1], v[18:19]
	v_cmp_le_u64_e64 s0, s[0:1], v[18:19]
	s_and_saveexec_b32 s1, s0
	s_xor_b32 s0, exec_lo, s1
; %bb.9:
	v_mul_u32_u24_e32 v2, 0x4d, v33
	s_mov_b32 s14, 0
                                        ; implicit-def: $vgpr33
                                        ; implicit-def: $vgpr3_vgpr4
	v_sub_nc_u32_e32 v24, v0, v2
                                        ; implicit-def: $vgpr0
	v_add_nc_u32_e32 v25, 0x4d, v24
	v_add_nc_u32_e32 v29, 0x9a, v24
	v_add_nc_u32_e32 v30, 0x134, v24
	v_add_nc_u32_e32 v31, 0x1ce, v24
; %bb.10:
	s_or_saveexec_b32 s1, s0
	v_mov_b32_e32 v2, s14
	v_mov_b32_e32 v5, s14
	v_mov_b32_e32 v11, s14
	v_mov_b32_e32 v9, s14
	v_mov_b32_e32 v8, s14
	v_mov_b32_e32 v7, s14
	v_mov_b32_e32 v6, s14
                                        ; implicit-def: $vgpr21
                                        ; implicit-def: $vgpr13
                                        ; implicit-def: $vgpr22
                                        ; implicit-def: $vgpr15
                                        ; implicit-def: $vgpr10
                                        ; implicit-def: $vgpr26
                                        ; implicit-def: $vgpr12
                                        ; implicit-def: $vgpr27
                                        ; implicit-def: $vgpr14
                                        ; implicit-def: $vgpr28
                                        ; implicit-def: $vgpr20
                                        ; implicit-def: $vgpr32
                                        ; implicit-def: $vgpr23
                                        ; implicit-def: $vgpr34
	s_xor_b32 exec_lo, exec_lo, s1
	s_cbranch_execz .LBB0_12
; %bb.11:
	s_add_u32 s6, s16, s6
	s_addc_u32 s7, s17, s7
	v_mul_u32_u24_e32 v2, 0x4d, v33
	s_load_dwordx2 s[6:7], s[6:7], 0x0
	v_sub_nc_u32_e32 v24, v0, v2
	v_lshlrev_b64 v[2:3], 2, v[3:4]
	v_mad_u64_u32 v[4:5], null, s20, v24, 0
	v_add_nc_u32_e32 v22, 0x21b, v24
	v_add_nc_u32_e32 v25, 0x4d, v24
	;; [unrolled: 1-line block ×5, first 2 shown]
	v_mad_u64_u32 v[6:7], null, s20, v22, 0
	v_mov_b32_e32 v0, v5
	v_mad_u64_u32 v[8:9], null, s20, v25, 0
	s_waitcnt lgkmcnt(0)
	v_mul_lo_u32 v5, s7, v18
	v_mul_lo_u32 v23, s6, v19
	v_mad_u64_u32 v[10:11], null, s6, v18, 0
	v_mad_u64_u32 v[12:13], null, s20, v26, 0
	;; [unrolled: 1-line block ×3, first 2 shown]
	v_mov_b32_e32 v0, v7
	v_mov_b32_e32 v7, v9
	v_add3_u32 v11, v11, v23, v5
	v_mad_u64_u32 v[20:21], null, s20, v29, 0
	v_mad_u64_u32 v[22:23], null, s21, v22, v[0:1]
	v_lshlrev_b64 v[10:11], 2, v[10:11]
	v_mov_b32_e32 v9, v13
	v_mov_b32_e32 v5, v14
	v_mad_u64_u32 v[13:14], null, s21, v25, v[7:8]
	v_add_nc_u32_e32 v34, 0x39c, v24
	v_add_co_u32 v0, s0, s8, v10
	v_mad_u64_u32 v[14:15], null, s21, v26, v[9:10]
	v_add_co_ci_u32_e64 v9, s0, s9, v11, s0
	v_mov_b32_e32 v7, v22
	v_lshlrev_b64 v[4:5], 2, v[4:5]
	v_add_co_u32 v40, s0, v0, v2
	v_add_co_ci_u32_e64 v41, s0, v9, v3, s0
	v_lshlrev_b64 v[2:3], 2, v[6:7]
	v_mov_b32_e32 v0, v21
	v_add_co_u32 v4, s0, v40, v4
	v_mov_b32_e32 v9, v13
	v_mov_b32_e32 v13, v14
	v_add_nc_u32_e32 v26, 0x2b5, v24
	v_add_co_ci_u32_e64 v5, s0, v41, v5, s0
	v_add_co_u32 v6, s0, v40, v2
	v_mad_u64_u32 v[10:11], null, s21, v29, v[0:1]
	v_add_co_ci_u32_e64 v7, s0, v41, v3, s0
	v_lshlrev_b64 v[2:3], 2, v[8:9]
	v_lshlrev_b64 v[8:9], 2, v[12:13]
	v_mad_u64_u32 v[11:12], null, s20, v26, 0
	v_mad_u64_u32 v[22:23], null, s20, v30, 0
	v_mov_b32_e32 v21, v10
	v_add_nc_u32_e32 v10, 0xe7, v24
	v_add_co_u32 v14, s0, v40, v2
	v_mov_b32_e32 v0, v12
	v_add_co_ci_u32_e64 v15, s0, v41, v3, s0
	v_mad_u64_u32 v[27:28], null, s20, v10, 0
	v_mad_u64_u32 v[12:13], null, s21, v26, v[0:1]
	v_mov_b32_e32 v0, v23
	v_add_co_u32 v8, s0, v40, v8
	v_add_co_ci_u32_e64 v9, s0, v41, v9, s0
	s_clause 0x3
	global_load_dword v2, v[4:5], off
	global_load_dword v13, v[6:7], off
	;; [unrolled: 1-line block ×4, first 2 shown]
	v_mad_u64_u32 v[7:8], null, s21, v30, v[0:1]
	v_mov_b32_e32 v6, v28
	v_add_nc_u32_e32 v30, 0x134, v24
	v_lshlrev_b64 v[8:9], 2, v[11:12]
	v_lshlrev_b64 v[3:4], 2, v[20:21]
	v_add_nc_u32_e32 v14, 0x34f, v24
	v_mad_u64_u32 v[32:33], null, s20, v34, 0
	v_mad_u64_u32 v[10:11], null, s21, v10, v[6:7]
	;; [unrolled: 1-line block ×3, first 2 shown]
	v_add_co_u32 v3, s0, v40, v3
	v_mov_b32_e32 v23, v7
	v_mad_u64_u32 v[20:21], null, s20, v14, 0
	v_add_co_ci_u32_e64 v4, s0, v41, v4, s0
	v_mov_b32_e32 v0, v12
	v_add_co_u32 v6, s0, v40, v8
	v_add_co_ci_u32_e64 v7, s0, v41, v9, s0
	v_mov_b32_e32 v28, v10
	v_lshlrev_b64 v[8:9], 2, v[22:23]
	v_mad_u64_u32 v[22:23], null, s21, v30, v[0:1]
	v_mov_b32_e32 v0, v21
	global_load_dword v26, v[6:7], off
	v_lshlrev_b64 v[6:7], 2, v[27:28]
	v_add_nc_u32_e32 v28, 0x181, v24
	v_add_co_u32 v8, s0, v40, v8
	v_mov_b32_e32 v12, v22
	v_mad_u64_u32 v[21:22], null, s21, v14, v[0:1]
	v_add_co_ci_u32_e64 v9, s0, v41, v9, s0
	v_mad_u64_u32 v[22:23], null, s20, v28, 0
	v_mov_b32_e32 v0, v33
	v_add_nc_u32_e32 v14, 0x3e9, v24
	global_load_dword v27, v[8:9], off
	v_lshlrev_b64 v[8:9], 2, v[11:12]
	v_add_co_u32 v6, s0, v40, v6
	v_mad_u64_u32 v[11:12], null, s21, v34, v[0:1]
	v_mad_u64_u32 v[34:35], null, s20, v14, 0
	v_mov_b32_e32 v10, v23
	v_add_nc_u32_e32 v31, 0x1ce, v24
	v_add_co_ci_u32_e64 v7, s0, v41, v7, s0
	v_add_co_u32 v38, s0, v40, v8
	v_mad_u64_u32 v[36:37], null, s20, v31, 0
	v_add_co_ci_u32_e64 v39, s0, v41, v9, s0
	v_lshlrev_b64 v[8:9], 2, v[20:21]
	v_mov_b32_e32 v0, v35
	v_mad_u64_u32 v[20:21], null, s21, v28, v[10:11]
	v_mov_b32_e32 v33, v11
	v_mov_b32_e32 v10, v37
	v_mad_u64_u32 v[11:12], null, s21, v14, v[0:1]
	v_add_co_u32 v8, s0, v40, v8
	v_mov_b32_e32 v23, v20
	v_lshlrev_b64 v[20:21], 2, v[32:33]
	v_add_co_ci_u32_e64 v9, s0, v41, v9, s0
	v_mad_u64_u32 v[32:33], null, s21, v31, v[10:11]
	v_mov_b32_e32 v35, v11
	v_add_co_u32 v10, s0, v40, v20
	v_add_co_ci_u32_e64 v11, s0, v41, v21, s0
	global_load_dword v28, v[8:9], off
	v_mov_b32_e32 v37, v32
	v_lshlrev_b64 v[20:21], 2, v[34:35]
	global_load_dword v32, v[10:11], off
	v_lshlrev_b64 v[8:9], 2, v[22:23]
	v_add_co_u32 v22, s0, v40, v8
	v_add_co_ci_u32_e64 v23, s0, v41, v9, s0
	v_lshlrev_b64 v[8:9], 2, v[36:37]
	v_add_co_u32 v10, s0, v40, v20
	v_add_co_ci_u32_e64 v11, s0, v41, v21, s0
	v_add_co_u32 v20, s0, v40, v8
	v_add_co_ci_u32_e64 v21, s0, v41, v9, s0
	s_clause 0x5
	global_load_dword v34, v[10:11], off
	global_load_dword v11, v[3:4], off
	;; [unrolled: 1-line block ×6, first 2 shown]
	s_waitcnt vmcnt(12)
	v_lshrrev_b32_e32 v21, 16, v13
	s_waitcnt vmcnt(10)
	v_lshrrev_b32_e32 v22, 16, v15
	;; [unrolled: 2-line block ×7, first 2 shown]
.LBB0_12:
	s_or_b32 exec_lo, exec_lo, s1
	v_mul_hi_u32 v0, 0xaaaaaaab, v1
	v_sub_f16_e32 v4, v5, v15
	s_waitcnt vmcnt(3)
	v_sub_f16_e32 v15, v9, v27
	v_sub_f16_e32 v3, v2, v13
	v_sub_f16_e32 v13, v11, v26
	s_waitcnt vmcnt(2)
	v_sub_f16_e32 v26, v8, v28
	s_waitcnt vmcnt(0)
	v_sub_f16_e32 v45, v6, v34
	v_fma_f16 v34, v9, 2.0, -v15
	v_lshrrev_b32_e32 v0, 1, v0
	v_sub_f16_e32 v35, v7, v32
	v_lshlrev_b32_e32 v27, 1, v24
	v_fma_f16 v36, v8, 2.0, -v26
	v_pack_b32_f16 v15, v34, v15
	v_lshl_add_u32 v0, v0, 1, v0
	v_fma_f16 v32, v5, 2.0, -v4
	v_fma_f16 v33, v11, 2.0, -v13
	;; [unrolled: 1-line block ×4, first 2 shown]
	v_sub_nc_u32_e32 v0, v1, v0
	v_fma_f16 v1, v2, 2.0, -v3
	v_pack_b32_f16 v36, v36, v26
	v_pack_b32_f16 v32, v32, v4
	;; [unrolled: 1-line block ×3, first 2 shown]
	v_mul_u32_u24_e32 v0, 0x436, v0
	v_pack_b32_f16 v38, v1, v3
	s_load_dwordx2 s[4:5], s[4:5], 0x0
	v_pack_b32_f16 v37, v37, v35
	v_pack_b32_f16 v39, v46, v45
	v_lshlrev_b32_e32 v28, 1, v0
	v_cmp_gt_u32_e64 s0, 21, v24
                                        ; implicit-def: $vgpr67
                                        ; implicit-def: $vgpr68
                                        ; implicit-def: $vgpr59
                                        ; implicit-def: $vgpr54
                                        ; implicit-def: $vgpr56
                                        ; implicit-def: $vgpr60
                                        ; implicit-def: $vgpr63
                                        ; implicit-def: $vgpr69
	v_add_nc_u32_e32 v34, 0, v28
	v_add3_u32 v26, 0, v27, v28
	v_lshl_add_u32 v0, v24, 2, v34
	v_add_nc_u32_e32 v27, v34, v27
	v_lshl_add_u32 v13, v25, 2, v34
	v_lshl_add_u32 v4, v29, 2, v34
	;; [unrolled: 1-line block ×4, first 2 shown]
	ds_write_b32 v0, v38
	ds_write_b32 v13, v32
	ds_write_b32 v4, v33
	ds_write_b32 v0, v15 offset:924
	ds_write_b32 v3, v36
	ds_write_b32 v0, v37 offset:1540
	ds_write_b32 v1, v39
	s_waitcnt lgkmcnt(0)
	s_barrier
	buffer_gl0_inv
	ds_read_u16 v42, v27
	ds_read_u16 v65, v26 offset:196
	ds_read_u16 v64, v26 offset:392
	;; [unrolled: 1-line block ×10, first 2 shown]
	v_lshlrev_b32_e32 v34, 1, v25
	s_and_saveexec_b32 s1, s0
	s_cbranch_execz .LBB0_14
; %bb.13:
	v_add3_u32 v15, 0, v34, v28
	ds_read_u16 v46, v26 offset:350
	ds_read_u16 v45, v26 offset:546
	;; [unrolled: 1-line block ×9, first 2 shown]
	ds_read_u16 v35, v15
	ds_read_u16 v54, v26 offset:2114
.LBB0_14:
	s_or_b32 exec_lo, exec_lo, s1
	v_lshrrev_b32_e32 v2, 16, v2
	v_lshrrev_b32_e32 v5, 16, v5
	;; [unrolled: 1-line block ×5, first 2 shown]
	v_sub_f16_e32 v15, v2, v21
	v_sub_f16_e32 v21, v5, v22
	v_lshrrev_b32_e32 v7, 16, v7
	v_lshrrev_b32_e32 v6, 16, v6
	v_sub_f16_e32 v10, v11, v10
	v_fma_f16 v2, v2, 2.0, -v15
	v_fma_f16 v5, v5, 2.0, -v21
	v_sub_f16_e32 v12, v9, v12
	v_sub_f16_e32 v14, v8, v14
	;; [unrolled: 1-line block ×4, first 2 shown]
	v_fma_f16 v11, v11, 2.0, -v10
	v_pack_b32_f16 v2, v2, v15
	v_fma_f16 v9, v9, 2.0, -v12
	v_pack_b32_f16 v5, v5, v21
	v_fma_f16 v8, v8, 2.0, -v14
	v_fma_f16 v7, v7, 2.0, -v33
	;; [unrolled: 1-line block ×3, first 2 shown]
	s_waitcnt lgkmcnt(0)
	s_barrier
	buffer_gl0_inv
	ds_write_b32 v0, v2
	ds_write_b32 v13, v5
	v_pack_b32_f16 v2, v11, v10
	v_pack_b32_f16 v5, v9, v12
	;; [unrolled: 1-line block ×5, first 2 shown]
	ds_write_b32 v4, v2
	ds_write_b32 v0, v5 offset:924
	ds_write_b32 v3, v6
	ds_write_b32 v0, v7 offset:1540
	ds_write_b32 v1, v8
	s_waitcnt lgkmcnt(0)
	s_barrier
	buffer_gl0_inv
	ds_read_u16 v36, v27
	ds_read_u16 v91, v26 offset:196
	ds_read_u16 v90, v26 offset:392
	;; [unrolled: 1-line block ×10, first 2 shown]
                                        ; implicit-def: $vgpr87
                                        ; implicit-def: $vgpr88
                                        ; implicit-def: $vgpr80
                                        ; implicit-def: $vgpr76
                                        ; implicit-def: $vgpr77
                                        ; implicit-def: $vgpr81
                                        ; implicit-def: $vgpr84
                                        ; implicit-def: $vgpr89
	s_and_saveexec_b32 s1, s0
	s_cbranch_execz .LBB0_16
; %bb.15:
	v_add3_u32 v0, 0, v34, v28
	ds_read_u16 v71, v26 offset:350
	ds_read_u16 v70, v26 offset:546
	;; [unrolled: 1-line block ×9, first 2 shown]
	ds_read_u16 v33, v0
	ds_read_u16 v76, v26 offset:2114
.LBB0_16:
	s_or_b32 exec_lo, exec_lo, s1
	v_and_b32_e32 v37, 1, v24
	v_and_b32_e32 v32, 1, v25
	v_lshrrev_b32_e32 v38, 1, v24
	v_mul_u32_u24_e32 v0, 10, v37
	v_mul_u32_u24_e32 v8, 10, v32
	;; [unrolled: 1-line block ×3, first 2 shown]
	v_lshlrev_b32_e32 v12, 2, v0
	v_lshlrev_b32_e32 v22, 2, v8
	v_or_b32_e32 v37, v38, v37
	s_clause 0x5
	global_load_dwordx4 v[0:3], v12, s[12:13]
	global_load_dwordx4 v[4:7], v12, s[12:13] offset:16
	global_load_dwordx4 v[8:11], v22, s[12:13]
	global_load_dwordx2 v[20:21], v12, s[12:13] offset:32
	global_load_dwordx4 v[12:15], v22, s[12:13] offset:16
	global_load_dwordx2 v[22:23], v22, s[12:13] offset:32
	v_lshlrev_b32_e32 v38, 1, v37
	v_lshrrev_b32_e32 v37, 1, v25
	s_waitcnt vmcnt(0) lgkmcnt(0)
	s_barrier
	buffer_gl0_inv
	v_add3_u32 v50, 0, v38, v28
	v_mul_f16_sdwa v49, v71, v8 dst_sel:DWORD dst_unused:UNUSED_PAD src0_sel:DWORD src1_sel:WORD_1
	v_mul_f16_sdwa v98, v91, v0 dst_sel:DWORD dst_unused:UNUSED_PAD src0_sel:DWORD src1_sel:WORD_1
	;; [unrolled: 1-line block ×31, first 2 shown]
	v_fmac_f16_e32 v98, v65, v0
	v_fma_f16 v65, v91, v0, -v100
	v_fmac_f16_e32 v96, v64, v1
	v_fma_f16 v64, v90, v1, -v101
	;; [unrolled: 2-line block ×4, first 2 shown]
	v_fma_f16 v0, v83, v4, -v104
	v_fma_f16 v1, v82, v5, -v105
	;; [unrolled: 1-line block ×3, first 2 shown]
	v_fmac_f16_e32 v95, v53, v7
	v_fma_f16 v53, v78, v7, -v107
	v_fmac_f16_e32 v97, v52, v20
	v_fma_f16 v52, v75, v20, -v112
	v_fma_f16 v20, v74, v21, -v113
	v_mul_f16_sdwa v47, v70, v9 dst_sel:DWORD dst_unused:UNUSED_PAD src0_sel:DWORD src1_sel:WORD_1
	v_mul_f16_sdwa v109, v45, v9 dst_sel:DWORD dst_unused:UNUSED_PAD src0_sel:DWORD src1_sel:WORD_1
	;; [unrolled: 1-line block ×9, first 2 shown]
	v_fmac_f16_e32 v72, v58, v4
	v_fmac_f16_e32 v73, v57, v5
	;; [unrolled: 1-line block ×4, first 2 shown]
	v_fma_f16 v46, v71, v8, -v108
	v_fmac_f16_e32 v43, v67, v10
	v_fma_f16 v8, v87, v10, -v110
	v_fmac_f16_e32 v99, v51, v21
	v_fmac_f16_e32 v38, v59, v12
	v_fma_f16 v4, v80, v12, -v114
	v_fmac_f16_e32 v41, v63, v14
	v_fma_f16 v7, v84, v14, -v116
	v_fmac_f16_e32 v48, v56, v22
	v_fmac_f16_e32 v66, v54, v23
	v_fma_f16 v10, v76, v23, -v119
	v_sub_f16_e32 v12, v65, v20
	v_sub_f16_e32 v14, v64, v52
	;; [unrolled: 1-line block ×5, first 2 shown]
	v_add_f16_e32 v56, v42, v98
	v_fmac_f16_e32 v47, v45, v9
	v_fma_f16 v45, v70, v9, -v109
	v_fmac_f16_e32 v40, v68, v11
	v_fma_f16 v6, v88, v11, -v111
	v_fmac_f16_e32 v39, v69, v13
	v_fma_f16 v5, v89, v13, -v115
	v_fmac_f16_e32 v44, v60, v15
	v_fma_f16 v9, v81, v15, -v117
	v_fma_f16 v11, v77, v22, -v118
	v_add_f16_e32 v13, v98, v99
	v_add_f16_e32 v15, v96, v97
	;; [unrolled: 1-line block ×5, first 2 shown]
	v_mul_f16_e32 v57, 0xb853, v12
	v_mul_f16_e32 v58, 0xbb47, v12
	v_mul_f16_e32 v59, 0xbbeb, v12
	v_mul_f16_e32 v60, 0xba0c, v12
	v_mul_f16_e32 v12, 0xb482, v12
	v_mul_f16_e32 v61, 0xbb47, v14
	v_mul_f16_e32 v63, 0xba0c, v14
	v_mul_f16_e32 v67, 0x3482, v14
	v_mul_f16_e32 v68, 0x3beb, v14
	v_mul_f16_e32 v14, 0x3853, v14
	v_mul_f16_e32 v69, 0xbbeb, v21
	v_mul_f16_e32 v70, 0x3482, v21
	v_mul_f16_e32 v71, 0x3b47, v21
	v_mul_f16_e32 v74, 0xb853, v21
	v_mul_f16_e32 v21, 0xba0c, v21
	v_mul_f16_e32 v75, 0xba0c, v23
	v_mul_f16_e32 v76, 0x3beb, v23
	v_mul_f16_e32 v77, 0xb853, v23
	v_mul_f16_e32 v78, 0xb482, v23
	v_mul_f16_e32 v23, 0x3b47, v23
	v_mul_f16_e32 v79, 0xb482, v54
	v_mul_f16_e32 v80, 0x3853, v54
	v_mul_f16_e32 v81, 0xba0c, v54
	v_mul_f16_e32 v82, 0x3b47, v54
	v_mul_f16_e32 v54, 0xbbeb, v54
	v_add_f16_e32 v56, v56, v96
	v_fmamk_f16 v83, v13, 0x3abb, v57
	v_fma_f16 v57, v13, 0x3abb, -v57
	v_fmamk_f16 v84, v13, 0x36a6, v58
	v_fma_f16 v58, v13, 0x36a6, -v58
	;; [unrolled: 2-line block ×25, first 2 shown]
	v_add_f16_e32 v55, v56, v94
	v_add_f16_e32 v56, v42, v83
	;; [unrolled: 1-line block ×56, first 2 shown]
	ds_write_b16 v50, v13 offset:4
	ds_write_b16 v50, v21 offset:8
	ds_write_b16 v50, v23 offset:12
	ds_write_b16 v50, v51 offset:16
	ds_write_b16 v50, v56 offset:20
	v_add_f16_e32 v13, v14, v99
	v_add_f16_e32 v15, v79, v15
	ds_write_b16 v50, v12 offset:24
	ds_write_b16 v50, v55 offset:28
	;; [unrolled: 1-line block ×4, first 2 shown]
	ds_write_b16 v50, v13
	ds_write_b16 v50, v15 offset:40
	s_and_saveexec_b32 s1, s0
	s_cbranch_execz .LBB0_18
; %bb.17:
	v_sub_f16_e32 v14, v46, v10
	v_add_f16_e32 v13, v49, v66
	v_sub_f16_e32 v21, v45, v11
	v_add_f16_e32 v15, v47, v48
	v_sub_f16_e32 v23, v8, v9
	v_mul_f16_e32 v56, 0xb482, v14
	v_add_f16_e32 v22, v43, v44
	v_mul_f16_e32 v57, 0x3853, v21
	v_sub_f16_e32 v51, v6, v7
	v_mul_f16_e32 v58, 0xba0c, v23
	v_fma_f16 v61, v13, 0xbbad, -v56
	v_add_f16_e32 v42, v40, v41
	v_fma_f16 v68, v15, 0x3abb, -v57
	v_sub_f16_e32 v55, v4, v5
	v_mul_f16_e32 v59, 0x3b47, v51
	v_add_f16_e32 v61, v35, v61
	v_fma_f16 v69, v22, 0xb93d, -v58
	v_fmac_f16_e32 v56, 0xbbad, v13
	v_add_f16_e32 v54, v38, v39
	v_mul_f16_e32 v60, 0xbbeb, v55
	v_add_f16_e32 v61, v68, v61
	v_mul_f16_e32 v63, 0xba0c, v14
	v_fma_f16 v70, v42, 0x36a6, -v59
	v_fmac_f16_e32 v57, 0x3abb, v15
	v_add_f16_e32 v56, v35, v56
	v_add_f16_e32 v61, v69, v61
	v_mul_f16_e32 v67, 0x3beb, v21
	v_fma_f16 v68, v54, 0xb08e, -v60
	v_fmac_f16_e32 v58, 0xb93d, v22
	v_fma_f16 v69, v13, 0xb93d, -v63
	v_add_f16_e32 v56, v57, v56
	v_add_f16_e32 v57, v70, v61
	v_fmac_f16_e32 v59, 0x36a6, v42
	v_fmac_f16_e32 v60, 0xb08e, v54
	v_add_f16_e32 v61, v35, v69
	v_add_f16_e32 v56, v58, v56
	;; [unrolled: 1-line block ×3, first 2 shown]
	v_fma_f16 v58, v15, 0xb08e, -v67
	v_mul_f16_e32 v68, 0xb853, v23
	v_fmac_f16_e32 v63, 0xb93d, v13
	v_add_f16_e32 v56, v59, v56
	v_fmac_f16_e32 v67, 0xb08e, v15
	v_add_f16_e32 v58, v58, v61
	v_fma_f16 v59, v22, 0x3abb, -v68
	v_mul_f16_e32 v61, 0xb482, v51
	v_add_f16_e32 v56, v60, v56
	v_add_f16_e32 v60, v35, v63
	v_mul_f16_e32 v63, 0xbbeb, v14
	v_add_f16_e32 v58, v59, v58
	v_fma_f16 v59, v42, 0xbbad, -v61
	v_fmac_f16_e32 v68, 0x3abb, v22
	v_add_f16_e32 v60, v67, v60
	v_mul_f16_e32 v67, 0x3482, v21
	v_mul_f16_e32 v69, 0x3b47, v55
	v_add_f16_e32 v58, v59, v58
	v_fma_f16 v59, v13, 0xb08e, -v63
	v_add_f16_e32 v60, v68, v60
	v_fmac_f16_e32 v61, 0xbbad, v42
	v_fma_f16 v68, v15, 0xbbad, -v67
	v_mul_f16_e32 v71, 0x3b47, v23
	v_add_f16_e32 v59, v35, v59
	v_add_f16_e32 v12, v35, v49
	v_fma_f16 v70, v54, 0x36a6, -v69
	v_add_f16_e32 v60, v61, v60
	v_fmac_f16_e32 v63, 0xb08e, v13
	v_add_f16_e32 v59, v68, v59
	v_fma_f16 v61, v22, 0x36a6, -v71
	v_mul_f16_e32 v68, 0xb853, v51
	v_add_f16_e32 v12, v12, v47
	v_add_f16_e32 v58, v70, v58
	v_add_f16_e32 v63, v35, v63
	v_fmac_f16_e32 v67, 0xbbad, v15
	v_add_f16_e32 v59, v61, v59
	v_fma_f16 v61, v42, 0x3abb, -v68
	v_mul_f16_e32 v70, 0xbb47, v14
	v_add_f16_e32 v12, v12, v43
	v_add_f16_e32 v63, v67, v63
	v_fmac_f16_e32 v71, 0x36a6, v22
	v_add_f16_e32 v59, v61, v59
	v_fma_f16 v61, v13, 0x36a6, -v70
	v_mul_f16_e32 v67, 0xba0c, v21
	v_fmac_f16_e32 v70, 0x36a6, v13
	v_mul_f16_e32 v14, 0xb853, v14
	v_add_f16_e32 v12, v12, v40
	v_add_f16_e32 v63, v71, v63
	v_fma_f16 v71, v15, 0xb93d, -v67
	v_add_f16_e32 v70, v35, v70
	v_fmac_f16_e32 v67, 0xb93d, v15
	v_mul_f16_e32 v21, 0xbb47, v21
	v_fma_f16 v76, v13, 0x3abb, -v14
	v_fmac_f16_e32 v14, 0x3abb, v13
	v_add_f16_e32 v12, v12, v38
	v_fmac_f16_e32 v69, 0x36a6, v54
	v_add_f16_e32 v13, v67, v70
	v_fma_f16 v67, v15, 0x36a6, -v21
	v_add_f16_e32 v14, v35, v14
	v_fmac_f16_e32 v21, 0x36a6, v15
	v_add_f16_e32 v12, v12, v39
	v_fmac_f16_e32 v68, 0x3abb, v42
	v_add_f16_e32 v61, v35, v61
	v_mul_f16_e32 v74, 0x3482, v23
	v_mul_f16_e32 v23, 0xbbeb, v23
	v_add_f16_e32 v60, v69, v60
	v_mul_f16_e32 v69, 0xba0c, v55
	v_add_f16_e32 v14, v21, v14
	v_mul_lo_u32 v21, v37, 22
	v_add_f16_e32 v12, v12, v41
	v_add_f16_e32 v15, v35, v76
	;; [unrolled: 1-line block ×4, first 2 shown]
	v_fma_f16 v68, v22, 0xbbad, -v74
	v_mul_f16_e32 v71, 0x3beb, v51
	v_fma_f16 v35, v22, 0xb08e, -v23
	v_mul_f16_e32 v51, 0xba0c, v51
	v_fmac_f16_e32 v23, 0xb08e, v22
	v_fma_f16 v75, v54, 0xb93d, -v69
	v_fmac_f16_e32 v69, 0xb93d, v54
	v_fmac_f16_e32 v74, 0xbbad, v22
	v_add_f16_e32 v12, v12, v44
	v_add_f16_e32 v15, v67, v15
	v_or_b32_e32 v21, v21, v32
	v_add_f16_e32 v61, v68, v61
	v_mul_f16_e32 v68, 0x3853, v55
	v_fma_f16 v22, v42, 0xb93d, -v51
	v_mul_f16_e32 v55, 0xb482, v55
	v_add_f16_e32 v14, v23, v14
	v_fmac_f16_e32 v51, 0xb93d, v42
	v_add_f16_e32 v63, v69, v63
	v_fma_f16 v69, v42, 0xb08e, -v71
	v_add_f16_e32 v13, v74, v13
	v_fmac_f16_e32 v71, 0xb08e, v42
	v_add_f16_e32 v12, v12, v48
	v_add_f16_e32 v15, v35, v15
	v_lshlrev_b32_e32 v21, 1, v21
	v_fma_f16 v23, v54, 0xbbad, -v55
	v_add_f16_e32 v14, v51, v14
	v_fmac_f16_e32 v55, 0xbbad, v54
	v_add_f16_e32 v59, v75, v59
	v_fma_f16 v75, v54, 0x3abb, -v68
	v_add_f16_e32 v13, v71, v13
	v_fmac_f16_e32 v68, 0x3abb, v54
	v_add_f16_e32 v12, v12, v66
	v_add_f16_e32 v35, v69, v61
	;; [unrolled: 1-line block ×3, first 2 shown]
	v_add3_u32 v21, 0, v21, v28
	v_add_f16_e32 v14, v55, v14
	v_add_f16_e32 v13, v68, v13
	;; [unrolled: 1-line block ×4, first 2 shown]
	ds_write_b16 v21, v12
	ds_write_b16 v21, v14 offset:4
	ds_write_b16 v21, v13 offset:8
	;; [unrolled: 1-line block ×10, first 2 shown]
.LBB0_18:
	s_or_b32 exec_lo, exec_lo, s1
	v_add_f16_e32 v12, v36, v65
	v_add_f16_e32 v13, v65, v20
	v_sub_f16_e32 v14, v98, v99
	v_add_f16_e32 v15, v64, v52
	v_sub_f16_e32 v21, v96, v97
	v_add_f16_e32 v12, v12, v64
	v_mul_f16_e32 v22, 0x3abb, v13
	v_mul_f16_e32 v23, 0x36a6, v13
	;; [unrolled: 1-line block ×4, first 2 shown]
	v_add_f16_e32 v12, v12, v62
	v_mul_f16_e32 v13, 0xbbad, v13
	v_mul_f16_e32 v51, 0x36a6, v15
	v_fmamk_f16 v56, v14, 0x3853, v22
	v_fmac_f16_e32 v22, 0xb853, v14
	v_add_f16_e32 v12, v12, v2
	v_mul_f16_e32 v54, 0xb93d, v15
	v_mul_f16_e32 v55, 0xbbad, v15
	v_fmamk_f16 v57, v14, 0x3b47, v23
	v_fmac_f16_e32 v23, 0xbb47, v14
	v_add_f16_e32 v12, v12, v0
	v_fmamk_f16 v58, v14, 0x3beb, v35
	v_fmac_f16_e32 v35, 0xbbeb, v14
	v_fmamk_f16 v59, v14, 0x3a0c, v42
	v_fmac_f16_e32 v42, 0xba0c, v14
	v_add_f16_e32 v12, v12, v1
	v_fmamk_f16 v60, v14, 0x3482, v13
	v_fmac_f16_e32 v13, 0xb482, v14
	v_fmamk_f16 v14, v21, 0x3b47, v51
	v_fmac_f16_e32 v51, 0xbb47, v21
	v_add_f16_e32 v12, v12, v3
	v_add_f16_e32 v56, v36, v56
	;; [unrolled: 1-line block ×3, first 2 shown]
	v_fmamk_f16 v61, v21, 0x3a0c, v54
	v_add_f16_e32 v57, v36, v57
	v_add_f16_e32 v12, v12, v53
	v_add_f16_e32 v23, v36, v23
	v_add_f16_e32 v58, v36, v58
	v_add_f16_e32 v35, v36, v35
	v_add_f16_e32 v59, v36, v59
	v_add_f16_e32 v12, v12, v52
	v_add_f16_e32 v42, v36, v42
	v_add_f16_e32 v52, v36, v60
	v_add_f16_e32 v13, v36, v13
	v_add_f16_e32 v14, v14, v56
	v_add_f16_e32 v56, v12, v20
	v_fmac_f16_e32 v54, 0xba0c, v21
	v_add_f16_e32 v12, v51, v22
	v_fmamk_f16 v20, v21, 0xb482, v55
	v_fmac_f16_e32 v55, 0x3482, v21
	v_mul_f16_e32 v36, 0xb08e, v15
	v_mul_f16_e32 v15, 0x3abb, v15
	v_add_f16_e32 v51, v62, v53
	v_add_f16_e32 v22, v61, v57
	;; [unrolled: 1-line block ×4, first 2 shown]
	v_fmamk_f16 v53, v21, 0xbbeb, v36
	v_fmac_f16_e32 v36, 0x3beb, v21
	v_fmamk_f16 v54, v21, 0xb853, v15
	v_sub_f16_e32 v55, v94, v95
	v_mul_f16_e32 v57, 0xb08e, v51
	v_fmac_f16_e32 v15, 0x3853, v21
	v_add_f16_e32 v21, v36, v42
	v_add_f16_e32 v36, v54, v52
	v_mul_f16_e32 v52, 0xbbad, v51
	v_fmamk_f16 v42, v55, 0x3beb, v57
	v_add_f16_e32 v13, v15, v13
	v_mul_f16_e32 v15, 0x36a6, v51
	v_add_f16_e32 v2, v2, v3
	v_add_f16_e32 v20, v20, v58
	;; [unrolled: 1-line block ×3, first 2 shown]
	v_fmamk_f16 v42, v55, 0xb482, v52
	v_fmac_f16_e32 v52, 0x3482, v55
	v_fmamk_f16 v54, v55, 0xbb47, v15
	v_fmac_f16_e32 v15, 0x3b47, v55
	v_add_f16_e32 v53, v53, v59
	v_add_f16_e32 v22, v42, v22
	v_mul_f16_e32 v42, 0x3abb, v51
	v_fmac_f16_e32 v57, 0xbbeb, v55
	v_add_f16_e32 v23, v52, v23
	v_add_f16_e32 v15, v15, v35
	v_mul_f16_e32 v3, 0xb93d, v51
	v_fmamk_f16 v35, v55, 0x3853, v42
	v_fmac_f16_e32 v42, 0xb853, v55
	v_sub_f16_e32 v51, v92, v93
	v_mul_f16_e32 v52, 0xb93d, v2
	v_add_f16_e32 v12, v57, v12
	v_add_f16_e32 v20, v54, v20
	v_fmamk_f16 v54, v55, 0x3a0c, v3
	v_add_f16_e32 v35, v35, v53
	v_add_f16_e32 v21, v42, v21
	v_fmac_f16_e32 v3, 0xba0c, v55
	v_fmamk_f16 v42, v51, 0x3a0c, v52
	v_mul_f16_e32 v53, 0xb08e, v2
	v_fmac_f16_e32 v52, 0xba0c, v51
	v_add_f16_e32 v36, v54, v36
	v_add_f16_e32 v3, v3, v13
	v_add_f16_e32 v13, v42, v14
	v_mul_f16_e32 v14, 0x3abb, v2
	v_fmamk_f16 v42, v51, 0xbbeb, v53
	v_add_f16_e32 v12, v52, v12
	v_mul_f16_e32 v52, 0xbbad, v2
	v_mul_f16_e32 v2, 0x36a6, v2
	v_fmac_f16_e32 v53, 0x3beb, v51
	v_fmamk_f16 v54, v51, 0x3853, v14
	v_add_f16_e32 v22, v42, v22
	v_fmac_f16_e32 v14, 0xb853, v51
	v_fmamk_f16 v42, v51, 0x3482, v52
	v_add_f16_e32 v0, v0, v1
	;; [unrolled: 3-line block ×3, first 2 shown]
	v_add_f16_e32 v53, v14, v15
	v_sub_f16_e32 v14, v72, v73
	v_fmac_f16_e32 v2, 0x3b47, v51
	v_add_f16_e32 v51, v52, v21
	v_add_f16_e32 v52, v1, v36
	v_mul_f16_e32 v1, 0x3abb, v0
	v_mul_f16_e32 v55, 0xb93d, v0
	v_add_f16_e32 v20, v54, v20
	v_add_f16_e32 v54, v2, v3
	v_mul_f16_e32 v15, 0xbbad, v0
	v_fmamk_f16 v2, v14, 0xb853, v1
	v_fmac_f16_e32 v1, 0x3853, v14
	v_fmamk_f16 v3, v14, 0x3a0c, v55
	v_mul_f16_e32 v60, 0x36a6, v0
	v_mul_f16_e32 v62, 0xb08e, v0
	v_lshlrev_b32_e32 v0, 1, v30
	v_add_f16_e32 v61, v1, v23
	v_lshlrev_b32_e32 v1, 1, v31
	v_fmamk_f16 v21, v14, 0x3482, v15
	v_fmac_f16_e32 v15, 0xb482, v14
	v_add_f16_e32 v63, v3, v20
	v_lshlrev_b32_e32 v3, 1, v29
	v_add3_u32 v0, 0, v0, v28
	v_add3_u32 v1, 0, v1, v28
	v_add_f16_e32 v59, v2, v22
	v_add3_u32 v2, 0, v34, v28
	v_add_f16_e32 v42, v42, v35
	v_add_f16_e32 v57, v21, v13
	;; [unrolled: 1-line block ×3, first 2 shown]
	v_fmac_f16_e32 v55, 0xba0c, v14
	v_fmamk_f16 v64, v14, 0xbb47, v60
	v_fmac_f16_e32 v60, 0x3b47, v14
	v_fmamk_f16 v65, v14, 0x3beb, v62
	v_fmac_f16_e32 v62, 0xbbeb, v14
	s_waitcnt lgkmcnt(0)
	s_barrier
	buffer_gl0_inv
	v_add3_u32 v3, 0, v3, v28
	ds_read_u16 v15, v26 offset:1848
	ds_read_u16 v31, v0
	ds_read_u16 v30, v1
	;; [unrolled: 1-line block ×4, first 2 shown]
	ds_read_u16 v21, v26 offset:462
	ds_read_u16 v20, v26 offset:770
	;; [unrolled: 1-line block ×7, first 2 shown]
	ds_read_u16 v36, v3
	ds_read_u16 v23, v26 offset:2002
	v_add_f16_e32 v42, v64, v42
	v_add_f16_e32 v53, v55, v53
	;; [unrolled: 1-line block ×5, first 2 shown]
	s_waitcnt lgkmcnt(0)
	s_barrier
	buffer_gl0_inv
	ds_write_b16 v50, v56
	ds_write_b16 v50, v57 offset:4
	ds_write_b16 v50, v59 offset:8
	;; [unrolled: 1-line block ×10, first 2 shown]
	s_and_saveexec_b32 s1, s0
	s_cbranch_execz .LBB0_20
; %bb.19:
	v_add_f16_e32 v42, v33, v46
	v_add_f16_e32 v46, v46, v10
	v_sub_f16_e32 v49, v49, v66
	v_add_f16_e32 v50, v45, v11
	v_sub_f16_e32 v47, v47, v48
	v_add_f16_e32 v42, v42, v45
	v_mul_f16_e32 v45, 0x3abb, v46
	v_mul_f16_e32 v48, 0x36a6, v46
	;; [unrolled: 1-line block ×4, first 2 shown]
	v_add_f16_e32 v42, v42, v8
	v_mul_f16_e32 v46, 0xbbad, v46
	v_mul_f16_e32 v53, 0x36a6, v50
	v_fmamk_f16 v56, v49, 0x3853, v45
	v_fmac_f16_e32 v45, 0xb853, v49
	v_add_f16_e32 v42, v42, v6
	v_mul_f16_e32 v54, 0xb93d, v50
	v_fmamk_f16 v57, v49, 0x3b47, v48
	v_fmac_f16_e32 v48, 0xbb47, v49
	v_fmamk_f16 v58, v49, 0x3beb, v51
	v_add_f16_e32 v42, v42, v4
	v_fmac_f16_e32 v51, 0xbbeb, v49
	v_fmamk_f16 v59, v49, 0x3a0c, v52
	v_fmac_f16_e32 v52, 0xba0c, v49
	v_fmamk_f16 v60, v49, 0x3482, v46
	v_add_f16_e32 v42, v42, v5
	v_fmac_f16_e32 v46, 0xb482, v49
	v_fmamk_f16 v49, v47, 0x3b47, v53
	v_fmac_f16_e32 v53, 0xbb47, v47
	v_add_f16_e32 v45, v33, v45
	v_add_f16_e32 v42, v42, v7
	v_mul_f16_e32 v55, 0xbbad, v50
	v_fmamk_f16 v61, v47, 0x3a0c, v54
	v_add_f16_e32 v48, v33, v48
	v_fmac_f16_e32 v54, 0xba0c, v47
	v_add_f16_e32 v42, v42, v9
	v_add_f16_e32 v8, v8, v9
	;; [unrolled: 1-line block ×3, first 2 shown]
	v_sub_f16_e32 v43, v43, v44
	v_add_f16_e32 v48, v54, v48
	v_add_f16_e32 v11, v42, v11
	;; [unrolled: 1-line block ×4, first 2 shown]
	v_mul_f16_e32 v44, 0xb08e, v8
	v_add_f16_e32 v57, v33, v57
	v_add_f16_e32 v10, v11, v10
	;; [unrolled: 1-line block ×3, first 2 shown]
	v_mul_f16_e32 v53, 0xb08e, v50
	v_mul_f16_e32 v50, 0x3abb, v50
	v_add_f16_e32 v58, v33, v58
	v_add_f16_e32 v51, v33, v51
	;; [unrolled: 1-line block ×3, first 2 shown]
	v_fmamk_f16 v9, v47, 0xbbeb, v53
	v_fmac_f16_e32 v53, 0x3beb, v47
	v_fmamk_f16 v54, v47, 0xb853, v50
	v_add_f16_e32 v33, v33, v46
	v_add_f16_e32 v46, v49, v56
	v_fmamk_f16 v45, v47, 0xb482, v55
	v_fmac_f16_e32 v55, 0x3482, v47
	v_fmac_f16_e32 v50, 0x3853, v47
	v_add_f16_e32 v42, v53, v42
	v_add_f16_e32 v47, v54, v52
	v_fmamk_f16 v52, v43, 0x3beb, v44
	v_mul_f16_e32 v53, 0xbbad, v8
	v_add_f16_e32 v49, v61, v57
	v_add_f16_e32 v33, v50, v33
	v_fmac_f16_e32 v44, 0xbbeb, v43
	v_add_f16_e32 v46, v52, v46
	v_fmamk_f16 v52, v43, 0xb482, v53
	v_mul_f16_e32 v50, 0x36a6, v8
	v_add_f16_e32 v6, v6, v7
	v_add_f16_e32 v45, v45, v58
	;; [unrolled: 1-line block ×4, first 2 shown]
	v_mul_f16_e32 v52, 0x3abb, v8
	v_add_f16_e32 v9, v9, v59
	v_add_f16_e32 v11, v44, v11
	v_fmamk_f16 v44, v43, 0xbb47, v50
	v_fmac_f16_e32 v50, 0x3b47, v43
	v_mul_f16_e32 v7, 0xb93d, v8
	v_fmamk_f16 v8, v43, 0x3853, v52
	v_fmac_f16_e32 v52, 0xb853, v43
	v_sub_f16_e32 v40, v40, v41
	v_mul_f16_e32 v41, 0xb93d, v6
	v_add_f16_e32 v44, v44, v45
	v_add_f16_e32 v45, v50, v51
	v_fmamk_f16 v50, v43, 0x3a0c, v7
	v_add_f16_e32 v8, v8, v9
	v_add_f16_e32 v9, v52, v42
	v_fmac_f16_e32 v7, 0xba0c, v43
	v_fmamk_f16 v42, v40, 0x3a0c, v41
	v_fmac_f16_e32 v41, 0xba0c, v40
	v_fmac_f16_e32 v53, 0x3482, v43
	v_add_f16_e32 v43, v50, v47
	v_mul_f16_e32 v47, 0xb08e, v6
	v_add_f16_e32 v7, v7, v33
	v_add_f16_e32 v33, v42, v46
	v_mul_f16_e32 v42, 0x3abb, v6
	v_add_f16_e32 v11, v41, v11
	v_mul_f16_e32 v41, 0xbbad, v6
	v_mul_f16_e32 v6, 0x36a6, v6
	v_add_f16_e32 v4, v4, v5
	v_mul_lo_u32 v37, v37, 22
	v_fmamk_f16 v46, v40, 0xbbeb, v47
	v_sub_f16_e32 v38, v38, v39
	v_fmamk_f16 v5, v40, 0xbb47, v6
	v_fmac_f16_e32 v6, 0x3b47, v40
	v_mul_f16_e32 v39, 0xbbad, v4
	v_fmac_f16_e32 v47, 0x3beb, v40
	v_fmamk_f16 v50, v40, 0x3853, v42
	v_add_f16_e32 v46, v46, v49
	v_fmac_f16_e32 v42, 0xb853, v40
	v_fmamk_f16 v49, v40, 0x3482, v41
	v_fmac_f16_e32 v41, 0xb482, v40
	v_mul_f16_e32 v40, 0x3abb, v4
	v_add_f16_e32 v5, v5, v43
	v_add_f16_e32 v6, v6, v7
	v_fmamk_f16 v7, v38, 0x3482, v39
	v_fmac_f16_e32 v39, 0xb482, v38
	v_mul_f16_e32 v43, 0xb93d, v4
	v_or_b32_e32 v32, v37, v32
	v_add_f16_e32 v42, v42, v45
	v_add_f16_e32 v9, v41, v9
	v_fmamk_f16 v41, v38, 0xb853, v40
	v_add_f16_e32 v11, v39, v11
	v_fmamk_f16 v39, v38, 0x3a0c, v43
	v_fmac_f16_e32 v43, 0xba0c, v38
	v_mul_f16_e32 v37, 0x36a6, v4
	v_add_f16_e32 v48, v53, v48
	v_mul_f16_e32 v4, 0xb08e, v4
	v_lshlrev_b32_e32 v32, 1, v32
	v_add_f16_e32 v44, v50, v44
	v_add_f16_e32 v8, v49, v8
	v_add_f16_e32 v7, v7, v33
	v_add_f16_e32 v33, v41, v46
	v_add_f16_e32 v41, v43, v42
	v_fmamk_f16 v42, v38, 0xbb47, v37
	v_add_f16_e32 v47, v47, v48
	v_fmac_f16_e32 v40, 0x3853, v38
	v_fmac_f16_e32 v37, 0x3b47, v38
	v_fmamk_f16 v43, v38, 0x3beb, v4
	v_fmac_f16_e32 v4, 0xbbeb, v38
	v_add3_u32 v32, 0, v32, v28
	v_add_f16_e32 v39, v39, v44
	v_add_f16_e32 v8, v42, v8
	;; [unrolled: 1-line block ×6, first 2 shown]
	ds_write_b16 v32, v10
	ds_write_b16 v32, v7 offset:4
	ds_write_b16 v32, v33 offset:8
	;; [unrolled: 1-line block ×10, first 2 shown]
.LBB0_20:
	s_or_b32 exec_lo, exec_lo, s1
	v_lshrrev_b16 v4, 1, v24
	v_lshrrev_b16 v5, 1, v25
	v_mov_b32_e32 v8, 6
	s_waitcnt lgkmcnt(0)
	s_barrier
	v_and_b32_e32 v4, 0x7f, v4
	buffer_gl0_inv
	v_mov_b32_e32 v52, 1
	v_mul_lo_u16 v4, 0xbb, v4
	v_lshrrev_b16 v39, 11, v4
	v_and_b32_e32 v4, 0x7f, v5
	v_mul_lo_u16 v5, v39, 22
	v_mul_lo_u16 v4, 0xbb, v4
	v_and_b32_e32 v39, 0xffff, v39
	v_sub_nc_u16 v40, v24, v5
	v_lshrrev_b16 v41, 11, v4
	v_mad_u32_u24 v39, 0x134, v39, 0
	v_mul_u32_u24_sdwa v4, v40, v8 dst_sel:DWORD dst_unused:UNUSED_PAD src0_sel:BYTE_0 src1_sel:DWORD
	v_mul_lo_u16 v5, v41, 22
	v_lshlrev_b32_sdwa v40, v52, v40 dst_sel:DWORD dst_unused:UNUSED_PAD src0_sel:DWORD src1_sel:BYTE_0
	v_and_b32_e32 v41, 0xffff, v41
	v_lshlrev_b32_e32 v9, 2, v4
	v_sub_nc_u16 v42, v25, v5
	v_add3_u32 v39, v39, v40, v28
	v_mad_u32_u24 v41, 0x134, v41, 0
	global_load_dwordx4 v[4:7], v9, s[12:13] offset:80
	v_mul_u32_u24_sdwa v8, v42, v8 dst_sel:DWORD dst_unused:UNUSED_PAD src0_sel:BYTE_0 src1_sel:DWORD
	v_lshlrev_b32_sdwa v42, v52, v42 dst_sel:DWORD dst_unused:UNUSED_PAD src0_sel:DWORD src1_sel:BYTE_0
	v_lshlrev_b32_e32 v37, 2, v8
	v_add3_u32 v28, v41, v42, v28
	s_clause 0x2
	global_load_dwordx2 v[32:33], v9, s[12:13] offset:96
	global_load_dwordx4 v[8:11], v37, s[12:13] offset:80
	global_load_dwordx2 v[37:38], v37, s[12:13] offset:96
	ds_read_u16 v43, v26 offset:1232
	ds_read_u16 v44, v26 offset:1848
	ds_read_u16 v45, v3
	ds_read_u16 v46, v0
	;; [unrolled: 1-line block ×5, first 2 shown]
	ds_read_u16 v50, v26 offset:462
	ds_read_u16 v51, v26 offset:770
	;; [unrolled: 1-line block ×7, first 2 shown]
	s_waitcnt vmcnt(0) lgkmcnt(0)
	s_barrier
	buffer_gl0_inv
	v_mul_f16_sdwa v40, v45, v4 dst_sel:DWORD dst_unused:UNUSED_PAD src0_sel:DWORD src1_sel:WORD_1
	v_mul_f16_sdwa v41, v36, v4 dst_sel:DWORD dst_unused:UNUSED_PAD src0_sel:DWORD src1_sel:WORD_1
	;; [unrolled: 1-line block ×24, first 2 shown]
	v_fmac_f16_e32 v40, v36, v4
	v_fma_f16 v4, v45, v4, -v41
	v_fmac_f16_e32 v42, v31, v5
	v_fmac_f16_e32 v62, v34, v32
	;; [unrolled: 1-line block ×3, first 2 shown]
	v_fma_f16 v15, v44, v33, -v65
	v_fma_f16 v5, v46, v5, -v57
	v_fmac_f16_e32 v58, v30, v6
	v_fma_f16 v6, v47, v6, -v59
	v_fmac_f16_e32 v60, v35, v7
	v_fma_f16 v7, v43, v7, -v61
	v_fma_f16 v30, v54, v32, -v63
	v_fmac_f16_e32 v66, v21, v8
	v_fma_f16 v8, v50, v8, -v67
	v_fmac_f16_e32 v68, v20, v9
	;; [unrolled: 2-line block ×6, first 2 shown]
	v_fma_f16 v11, v52, v11, -v73
	v_add_f16_e32 v21, v40, v64
	v_add_f16_e32 v22, v4, v15
	v_sub_f16_e32 v4, v4, v15
	v_add_f16_e32 v15, v42, v62
	v_add_f16_e32 v29, v5, v30
	v_sub_f16_e32 v31, v42, v62
	v_sub_f16_e32 v5, v5, v30
	v_add_f16_e32 v30, v58, v60
	v_add_f16_e32 v32, v6, v7
	v_sub_f16_e32 v33, v60, v58
	;; [unrolled: 4-line block ×3, first 2 shown]
	v_add_f16_e32 v20, v68, v74
	v_add_f16_e32 v36, v9, v14
	v_sub_f16_e32 v9, v9, v14
	v_add_f16_e32 v38, v10, v11
	v_sub_f16_e32 v10, v11, v10
	;; [unrolled: 2-line block ×3, first 2 shown]
	v_sub_f16_e32 v35, v66, v76
	v_sub_f16_e32 v37, v68, v74
	v_add_f16_e32 v14, v70, v72
	v_sub_f16_e32 v40, v72, v70
	v_add_f16_e32 v41, v29, v22
	v_sub_f16_e32 v42, v15, v21
	v_sub_f16_e32 v43, v29, v22
	;; [unrolled: 1-line block ×6, first 2 shown]
	v_add_f16_e32 v44, v33, v31
	v_add_f16_e32 v45, v6, v5
	v_sub_f16_e32 v46, v33, v31
	v_sub_f16_e32 v47, v6, v5
	;; [unrolled: 1-line block ×3, first 2 shown]
	v_add_f16_e32 v50, v20, v7
	v_add_f16_e32 v51, v36, v34
	;; [unrolled: 1-line block ×3, first 2 shown]
	v_sub_f16_e32 v57, v10, v9
	v_sub_f16_e32 v9, v9, v8
	v_add_f16_e32 v11, v30, v11
	v_sub_f16_e32 v33, v23, v33
	v_sub_f16_e32 v6, v4, v6
	;; [unrolled: 1-line block ×9, first 2 shown]
	v_add_f16_e32 v54, v40, v37
	v_sub_f16_e32 v56, v40, v37
	v_sub_f16_e32 v37, v37, v35
	v_add_f16_e32 v30, v32, v41
	v_add_f16_e32 v23, v44, v23
	;; [unrolled: 1-line block ×3, first 2 shown]
	v_mul_f16_e32 v21, 0x3a52, v21
	v_mul_f16_e32 v22, 0x3a52, v22
	;; [unrolled: 1-line block ×7, first 2 shown]
	v_add_f16_e32 v14, v14, v50
	v_add_f16_e32 v38, v38, v51
	v_sub_f16_e32 v10, v8, v10
	v_add_f16_e32 v8, v55, v8
	v_mul_f16_e32 v55, 0x3846, v57
	v_mul_f16_e32 v57, 0xbb00, v9
	v_add_f16_e32 v13, v13, v11
	v_sub_f16_e32 v40, v35, v40
	v_mul_f16_e32 v46, 0xbb00, v31
	v_add_f16_e32 v35, v54, v35
	v_mul_f16_e32 v7, 0x3a52, v7
	v_mul_f16_e32 v34, 0x3a52, v34
	;; [unrolled: 1-line block ×6, first 2 shown]
	v_add_f16_e32 v49, v49, v30
	v_fmamk_f16 v15, v15, 0x2b26, v21
	v_fmamk_f16 v29, v29, 0x2b26, v22
	v_fma_f16 v32, v42, 0x39e0, -v32
	v_fma_f16 v41, v43, 0x39e0, -v41
	;; [unrolled: 1-line block ×4, first 2 shown]
	v_fmamk_f16 v42, v33, 0xb574, v44
	v_fmamk_f16 v43, v6, 0xb574, v45
	v_fma_f16 v31, v31, 0xbb00, -v44
	v_fma_f16 v5, v5, 0xbb00, -v45
	;; [unrolled: 1-line block ×3, first 2 shown]
	v_add_f16_e32 v12, v12, v14
	v_add_f16_e32 v44, v48, v38
	v_fmamk_f16 v48, v10, 0xb574, v55
	v_fma_f16 v9, v9, 0xbb00, -v55
	v_fma_f16 v10, v10, 0x3574, -v57
	v_fmamk_f16 v11, v11, 0xbcab, v13
	v_fma_f16 v33, v33, 0x3574, -v46
	v_fmamk_f16 v20, v20, 0x2b26, v7
	v_fmamk_f16 v36, v36, 0x2b26, v34
	v_fma_f16 v45, v52, 0x39e0, -v50
	v_fma_f16 v46, v53, 0x39e0, -v51
	;; [unrolled: 1-line block ×4, first 2 shown]
	v_fmamk_f16 v47, v40, 0xb574, v54
	v_fma_f16 v37, v37, 0xbb00, -v54
	v_fma_f16 v40, v40, 0x3574, -v56
	v_fmamk_f16 v30, v30, 0xbcab, v49
	v_fmac_f16_e32 v43, 0xb70e, v4
	v_fmac_f16_e32 v5, 0xb70e, v4
	;; [unrolled: 1-line block ×3, first 2 shown]
	v_fmamk_f16 v4, v14, 0xbcab, v12
	v_fmamk_f16 v14, v38, 0xbcab, v44
	v_fmac_f16_e32 v48, 0xb70e, v8
	v_fmac_f16_e32 v9, 0xb70e, v8
	;; [unrolled: 1-line block ×3, first 2 shown]
	v_add_f16_e32 v8, v15, v11
	v_add_f16_e32 v15, v32, v11
	;; [unrolled: 1-line block ×3, first 2 shown]
	v_fmac_f16_e32 v42, 0xb70e, v23
	v_fmac_f16_e32 v31, 0xb70e, v23
	;; [unrolled: 1-line block ×5, first 2 shown]
	ds_write_b16 v39, v13
	v_add_f16_e32 v13, v29, v30
	v_add_f16_e32 v23, v41, v30
	;; [unrolled: 1-line block ×11, first 2 shown]
	v_sub_f16_e32 v36, v15, v5
	v_add_f16_e32 v5, v5, v15
	v_fmac_f16_e32 v47, 0xb70e, v35
	v_sub_f16_e32 v32, v13, v42
	v_sub_f16_e32 v35, v21, v33
	v_add_f16_e32 v38, v31, v23
	v_sub_f16_e32 v23, v23, v31
	v_sub_f16_e32 v6, v11, v6
	v_add_f16_e32 v31, v33, v21
	v_sub_f16_e32 v8, v8, v43
	v_add_f16_e32 v33, v42, v13
	v_add_f16_e32 v11, v48, v20
	;; [unrolled: 1-line block ×3, first 2 shown]
	v_sub_f16_e32 v42, v7, v40
	v_sub_f16_e32 v15, v29, v9
	v_add_f16_e32 v43, v37, v30
	v_add_f16_e32 v9, v9, v29
	v_sub_f16_e32 v29, v30, v37
	v_sub_f16_e32 v4, v4, v10
	v_add_f16_e32 v30, v40, v7
	v_sub_f16_e32 v7, v20, v48
	ds_write_b16 v39, v14 offset:44
	ds_write_b16 v39, v34 offset:88
	ds_write_b16 v39, v36 offset:132
	ds_write_b16 v39, v5 offset:176
	ds_write_b16 v39, v6 offset:220
	ds_write_b16 v39, v8 offset:264
	ds_write_b16 v28, v12
	ds_write_b16 v28, v11 offset:44
	ds_write_b16 v28, v13 offset:88
	ds_write_b16 v28, v15 offset:132
	ds_write_b16 v28, v9 offset:176
	ds_write_b16 v28, v4 offset:220
	ds_write_b16 v28, v7 offset:264
	s_waitcnt lgkmcnt(0)
	s_barrier
	buffer_gl0_inv
	ds_read_u16 v14, v26 offset:1848
	ds_read_u16 v12, v0
	ds_read_u16 v13, v1
	ds_read_u16 v4, v2
	ds_read_u16 v5, v27
	ds_read_u16 v7, v26 offset:462
	ds_read_u16 v6, v26 offset:770
	;; [unrolled: 1-line block ×7, first 2 shown]
	ds_read_u16 v21, v3
	ds_read_u16 v11, v26 offset:2002
	v_sub_f16_e32 v41, v22, v47
	v_add_f16_e32 v22, v47, v22
	s_waitcnt lgkmcnt(0)
	s_barrier
	buffer_gl0_inv
	ds_write_b16 v39, v49
	ds_write_b16 v39, v32 offset:44
	ds_write_b16 v39, v35 offset:88
	;; [unrolled: 1-line block ×6, first 2 shown]
	ds_write_b16 v28, v44
	ds_write_b16 v28, v41 offset:44
	ds_write_b16 v28, v42 offset:88
	;; [unrolled: 1-line block ×6, first 2 shown]
	s_waitcnt lgkmcnt(0)
	s_barrier
	buffer_gl0_inv
	s_and_saveexec_b32 s0, vcc_lo
	s_cbranch_execz .LBB0_22
; %bb.21:
	v_mul_u32_u24_e32 v22, 6, v24
	v_mul_hi_u32 v39, 0x3531dec1, v24
	v_add_nc_u32_e32 v40, 0x4d, v24
	v_mul_lo_u32 v38, s4, v19
	v_lshlrev_b32_e32 v23, 2, v22
	v_mul_i32_i24_e32 v22, 6, v25
	v_mul_lo_u32 v25, s5, v18
	v_mad_u64_u32 v[18:19], null, s4, v18, 0
	s_clause 0x1
	global_load_dwordx4 v[28:31], v23, s[12:13] offset:608
	global_load_dwordx2 v[36:37], v23, s[12:13] offset:624
	v_mov_b32_e32 v23, 0
	v_lshrrev_b32_e32 v39, 5, v39
	v_add3_u32 v19, v19, v38, v25
	v_lshlrev_b64 v[22:23], 2, v[22:23]
	v_mul_lo_u32 v25, 0x9a, v39
	v_add_co_u32 v22, vcc_lo, s12, v22
	v_add_co_ci_u32_e32 v23, vcc_lo, s13, v23, vcc_lo
	v_sub_nc_u32_e32 v43, v24, v25
	s_clause 0x1
	global_load_dwordx4 v[32:35], v[22:23], off offset:608
	global_load_dwordx2 v[22:23], v[22:23], off offset:624
	ds_read_u16 v52, v26 offset:1694
	ds_read_u16 v53, v26 offset:1540
	;; [unrolled: 1-line block ×6, first 2 shown]
	ds_read_u16 v58, v3
	v_mul_hi_u32 v3, 0x3531dec1, v40
	ds_read_u16 v59, v2
	ds_read_u16 v60, v1
	;; [unrolled: 1-line block ×3, first 2 shown]
	v_lshlrev_b64 v[0:1], 2, v[18:19]
	v_add_nc_u32_e32 v45, 0x9a, v43
	v_add_nc_u32_e32 v47, 0x134, v43
	;; [unrolled: 1-line block ×5, first 2 shown]
	v_lshrrev_b32_e32 v42, 5, v3
	v_lshlrev_b64 v[2:3], 2, v[16:17]
	v_add_co_u32 v0, vcc_lo, s10, v0
	v_add_co_ci_u32_e32 v1, vcc_lo, s11, v1, vcc_lo
	v_mul_lo_u32 v16, 0x9a, v42
	v_add_co_u32 v66, vcc_lo, v0, v2
	v_add_co_ci_u32_e32 v67, vcc_lo, v1, v3, vcc_lo
	v_mad_u64_u32 v[0:1], null, s2, v43, 0
	v_add_nc_u32_e32 v51, 0x39c, v43
	v_sub_nc_u32_e32 v2, v40, v16
	v_mad_u64_u32 v[16:17], null, s2, v45, 0
	v_mad_u64_u32 v[18:19], null, s2, v47, 0
	;; [unrolled: 1-line block ×4, first 2 shown]
	ds_read_u16 v62, v26 offset:2002
	ds_read_u16 v63, v26 offset:1848
	;; [unrolled: 1-line block ×3, first 2 shown]
	ds_read_u16 v65, v27
	v_mad_u64_u32 v[26:27], null, s2, v49, 0
	v_mad_u64_u32 v[38:39], null, s2, v50, 0
	;; [unrolled: 1-line block ×4, first 2 shown]
	v_mov_b32_e32 v1, v17
	v_mov_b32_e32 v3, v19
	;; [unrolled: 1-line block ×4, first 2 shown]
	v_mad_u64_u32 v[43:44], null, s2, v2, 0
	v_mov_b32_e32 v25, v39
	v_mov_b32_e32 v27, v41
	v_add_nc_u32_e32 v68, 0x9a, v2
	v_mad_u64_u32 v[45:46], null, s3, v45, v[1:2]
	v_mad_u64_u32 v[46:47], null, s3, v47, v[3:4]
	;; [unrolled: 1-line block ×5, first 2 shown]
	v_mov_b32_e32 v1, v42
	v_mov_b32_e32 v3, v44
	;; [unrolled: 1-line block ×5, first 2 shown]
	v_lshlrev_b64 v[0:1], 2, v[0:1]
	v_mad_u64_u32 v[44:45], null, s3, v2, v[3:4]
	v_mov_b32_e32 v39, v49
	v_lshlrev_b64 v[16:17], 2, v[16:17]
	v_lshlrev_b64 v[18:19], 2, v[18:19]
	v_add_co_u32 v0, vcc_lo, v66, v0
	v_add_co_ci_u32_e32 v1, vcc_lo, v67, v1, vcc_lo
	v_lshlrev_b64 v[24:25], 2, v[24:25]
	v_add_co_u32 v16, vcc_lo, v66, v16
	v_add_co_ci_u32_e32 v17, vcc_lo, v67, v17, vcc_lo
	v_add_co_u32 v18, vcc_lo, v66, v18
	v_add_co_ci_u32_e32 v19, vcc_lo, v67, v19, vcc_lo
	v_lshlrev_b64 v[38:39], 2, v[38:39]
	v_add_co_u32 v24, vcc_lo, v66, v24
	v_add_co_ci_u32_e32 v25, vcc_lo, v67, v25, vcc_lo
	s_waitcnt vmcnt(3)
	v_mad_u64_u32 v[41:42], null, s3, v51, v[27:28]
	v_mad_u64_u32 v[50:51], null, s2, v68, 0
	v_mov_b32_e32 v27, v48
	v_lshlrev_b64 v[42:43], 2, v[43:44]
	v_lshrrev_b32_e32 v44, 16, v29
	v_lshrrev_b32_e32 v47, 16, v31
	v_mul_f16_e32 v48, v21, v28
	s_waitcnt vmcnt(2)
	v_lshrrev_b32_e32 v49, 16, v36
	v_mov_b32_e32 v3, v51
	v_lshrrev_b32_e32 v51, 16, v37
	v_mul_f16_e32 v69, v20, v31
	v_mul_f16_e32 v70, v13, v30
	;; [unrolled: 1-line block ×3, first 2 shown]
	v_mad_u64_u32 v[45:46], null, s3, v68, v[3:4]
	v_lshrrev_b32_e32 v3, 16, v28
	v_lshrrev_b32_e32 v46, 16, v30
	v_mul_f16_e32 v68, v14, v37
	v_mul_f16_e32 v72, v15, v36
	s_waitcnt lgkmcnt(10)
	v_fmac_f16_e32 v69, v55, v47
	s_waitcnt lgkmcnt(7)
	v_fmac_f16_e32 v48, v58, v3
	;; [unrolled: 2-line block ×4, first 2 shown]
	v_fmac_f16_e32 v71, v61, v44
	v_fmac_f16_e32 v72, v53, v49
	v_mul_f16_e32 v14, v14, v51
	v_mul_f16_e32 v3, v21, v3
	;; [unrolled: 1-line block ×6, first 2 shown]
	s_waitcnt vmcnt(1)
	v_lshrrev_b32_e32 v21, 16, v32
	v_lshrrev_b32_e32 v44, 16, v33
	v_lshrrev_b32_e32 v46, 16, v34
	v_lshrrev_b32_e32 v47, 16, v35
	s_waitcnt vmcnt(0)
	v_lshrrev_b32_e32 v51, 16, v22
	v_lshrrev_b32_e32 v73, 16, v23
	v_mul_f16_e32 v49, v7, v32
	v_mul_f16_e32 v74, v11, v23
	;; [unrolled: 1-line block ×6, first 2 shown]
	v_sub_f16_e32 v79, v48, v68
	v_sub_f16_e32 v80, v69, v70
	;; [unrolled: 1-line block ×3, first 2 shown]
	v_fma_f16 v14, v63, v37, -v14
	v_fma_f16 v3, v58, v28, -v3
	;; [unrolled: 1-line block ×6, first 2 shown]
	v_add_f16_e32 v28, v48, v68
	v_add_f16_e32 v29, v69, v70
	;; [unrolled: 1-line block ×3, first 2 shown]
	v_mul_f16_e32 v11, v11, v73
	v_mul_f16_e32 v7, v7, v21
	;; [unrolled: 1-line block ×6, first 2 shown]
	s_waitcnt lgkmcnt(1)
	v_fmac_f16_e32 v49, v64, v21
	v_fmac_f16_e32 v74, v62, v73
	;; [unrolled: 1-line block ×6, first 2 shown]
	v_sub_f16_e32 v31, v80, v81
	v_add_f16_e32 v36, v80, v81
	v_add_f16_e32 v37, v3, v14
	;; [unrolled: 1-line block ×4, first 2 shown]
	v_sub_f16_e32 v47, v28, v29
	v_sub_f16_e32 v48, v29, v30
	v_add_f16_e32 v51, v28, v30
	v_sub_f16_e32 v3, v3, v14
	v_sub_f16_e32 v13, v20, v13
	;; [unrolled: 1-line block ×4, first 2 shown]
	v_fma_f16 v11, v62, v23, -v11
	v_fma_f16 v7, v64, v32, -v7
	;; [unrolled: 1-line block ×6, first 2 shown]
	v_sub_f16_e32 v21, v79, v80
	v_sub_f16_e32 v15, v30, v28
	v_sub_f16_e32 v20, v49, v74
	v_sub_f16_e32 v28, v75, v76
	v_sub_f16_e32 v30, v77, v78
	v_add_f16_e32 v22, v49, v74
	v_add_f16_e32 v23, v75, v76
	;; [unrolled: 1-line block ×3, first 2 shown]
	v_mul_f16_e32 v31, 0x3846, v31
	v_add_f16_e32 v33, v79, v36
	v_sub_f16_e32 v34, v37, v44
	v_sub_f16_e32 v35, v44, v46
	v_add_f16_e32 v36, v37, v46
	v_mul_f16_e32 v49, 0x3a52, v47
	v_mul_f16_e32 v48, 0x2b26, v48
	v_add_f16_e32 v29, v29, v51
	v_sub_f16_e32 v51, v3, v13
	v_sub_f16_e32 v52, v13, v12
	v_add_f16_e32 v13, v13, v12
	v_mul_f16_e32 v53, 0xbb00, v14
	v_sub_f16_e32 v12, v12, v3
	v_add_f16_e32 v55, v7, v11
	v_add_f16_e32 v56, v9, v10
	;; [unrolled: 1-line block ×3, first 2 shown]
	v_sub_f16_e32 v37, v46, v37
	v_sub_f16_e32 v46, v20, v28
	;; [unrolled: 1-line block ×3, first 2 shown]
	v_add_f16_e32 v28, v28, v30
	v_sub_f16_e32 v58, v22, v23
	v_sub_f16_e32 v60, v23, v32
	v_add_f16_e32 v61, v22, v32
	v_sub_f16_e32 v7, v7, v11
	v_sub_f16_e32 v9, v9, v10
	;; [unrolled: 1-line block ×5, first 2 shown]
	v_fmamk_f16 v11, v21, 0xb574, v31
	v_mul_f16_e32 v22, 0x3a52, v34
	v_mul_f16_e32 v30, 0x2b26, v35
	v_add_f16_e32 v32, v44, v36
	v_fmamk_f16 v35, v47, 0x3a52, v48
	v_add_f16_e32 v5, v5, v29
	v_mul_f16_e32 v36, 0x3846, v52
	v_add_f16_e32 v3, v3, v13
	v_fma_f16 v13, v21, 0x3574, -v53
	v_fma_f16 v21, v15, 0xb9e0, -v49
	v_mul_f16_e32 v44, 0xbb00, v12
	v_fma_f16 v15, v15, 0x39e0, -v48
	v_sub_f16_e32 v47, v56, v57
	v_add_f16_e32 v48, v55, v57
	v_fma_f16 v14, v14, 0xbb00, -v31
	v_mul_f16_e32 v31, 0x3846, v54
	v_add_f16_e32 v20, v20, v28
	v_sub_f16_e32 v28, v55, v56
	v_mul_f16_e32 v49, 0x3a52, v58
	v_mul_f16_e32 v52, 0x2b26, v60
	v_add_f16_e32 v23, v23, v61
	v_sub_f16_e32 v53, v7, v9
	v_sub_f16_e32 v54, v9, v6
	v_add_f16_e32 v9, v9, v6
	v_mul_f16_e32 v60, 0xbb00, v8
	v_sub_f16_e32 v55, v57, v55
	v_sub_f16_e32 v6, v6, v7
	v_fmamk_f16 v34, v34, 0x3a52, v30
	s_waitcnt lgkmcnt(0)
	v_add_f16_e32 v57, v65, v32
	v_fmamk_f16 v29, v29, 0xbcab, v5
	v_fmamk_f16 v61, v51, 0xb574, v36
	v_fma_f16 v22, v37, 0xb9e0, -v22
	v_fma_f16 v44, v51, 0x3574, -v44
	;; [unrolled: 1-line block ×4, first 2 shown]
	v_mul_f16_e32 v37, 0x2b26, v47
	v_add_f16_e32 v47, v56, v48
	v_lshlrev_b64 v[26:27], 2, v[26:27]
	v_fmac_f16_e32 v11, 0xb70e, v33
	v_fmac_f16_e32 v13, 0xb70e, v33
	;; [unrolled: 1-line block ×3, first 2 shown]
	v_fmamk_f16 v33, v46, 0xb574, v31
	v_mul_f16_e32 v36, 0x3a52, v28
	v_add_f16_e32 v4, v4, v23
	v_mul_f16_e32 v51, 0x3846, v54
	v_add_f16_e32 v7, v7, v9
	v_fma_f16 v9, v46, 0x3574, -v60
	v_fma_f16 v46, v10, 0xb9e0, -v49
	v_mul_f16_e32 v49, 0xbb00, v6
	v_fma_f16 v8, v8, 0xbb00, -v31
	v_fmamk_f16 v31, v32, 0xbcab, v57
	v_fmac_f16_e32 v61, 0xb70e, v3
	v_fmac_f16_e32 v44, 0xb70e, v3
	;; [unrolled: 1-line block ×3, first 2 shown]
	v_add_f16_e32 v3, v15, v29
	v_pack_b32_f16 v5, v5, v57
	v_fmamk_f16 v15, v28, 0x3a52, v37
	v_add_f16_e32 v28, v59, v47
	v_lshlrev_b64 v[40:41], 2, v[40:41]
	v_add_co_u32 v26, vcc_lo, v66, v26
	v_fmamk_f16 v48, v58, 0x3a52, v52
	v_fma_f16 v10, v10, 0x39e0, -v52
	v_add_f16_e32 v32, v35, v29
	v_add_f16_e32 v21, v21, v29
	v_fmac_f16_e32 v33, 0xb70e, v20
	v_fmamk_f16 v23, v23, 0xbcab, v4
	v_fmamk_f16 v29, v53, 0xb574, v51
	v_fmac_f16_e32 v9, 0xb70e, v20
	v_fma_f16 v35, v55, 0xb9e0, -v36
	v_fma_f16 v36, v53, 0x3574, -v49
	v_fmac_f16_e32 v8, 0xb70e, v20
	v_fma_f16 v6, v6, 0xbb00, -v51
	v_add_f16_e32 v20, v34, v31
	v_add_f16_e32 v22, v22, v31
	global_store_dword v[0:1], v5, off
	v_fmamk_f16 v0, v47, 0xbcab, v28
	v_add_co_ci_u32_e32 v27, vcc_lo, v67, v27, vcc_lo
	v_add_co_u32 v38, vcc_lo, v66, v38
	v_add_f16_e32 v30, v30, v31
	v_add_co_ci_u32_e32 v39, vcc_lo, v67, v39, vcc_lo
	v_add_co_u32 v40, vcc_lo, v66, v40
	v_sub_f16_e32 v34, v32, v61
	v_sub_f16_e32 v49, v21, v44
	v_add_f16_e32 v31, v12, v3
	v_sub_f16_e32 v3, v3, v12
	v_add_f16_e32 v12, v44, v21
	v_add_f16_e32 v21, v61, v32
	;; [unrolled: 1-line block ×3, first 2 shown]
	v_fmac_f16_e32 v29, 0xb70e, v7
	v_add_f16_e32 v5, v46, v23
	v_fmac_f16_e32 v36, 0xb70e, v7
	v_fmac_f16_e32 v6, 0xb70e, v7
	v_add_f16_e32 v7, v10, v23
	v_add_f16_e32 v10, v11, v20
	;; [unrolled: 1-line block ×3, first 2 shown]
	v_sub_f16_e32 v13, v22, v13
	v_sub_f16_e32 v11, v20, v11
	v_add_f16_e32 v22, v35, v0
	v_add_co_ci_u32_e32 v41, vcc_lo, v67, v41, vcc_lo
	v_pack_b32_f16 v4, v4, v28
	v_sub_f16_e32 v28, v30, v14
	v_add_f16_e32 v14, v14, v30
	v_add_co_u32 v42, vcc_lo, v66, v42
	v_fma_f16 v37, v55, 0x39e0, -v37
	v_add_co_ci_u32_e32 v43, vcc_lo, v67, v43, vcc_lo
	v_sub_f16_e32 v20, v1, v29
	v_sub_f16_e32 v30, v5, v36
	v_add_f16_e32 v32, v6, v7
	v_sub_f16_e32 v35, v7, v6
	v_add_f16_e32 v36, v36, v5
	v_add_f16_e32 v29, v29, v1
	v_pack_b32_f16 v1, v21, v11
	v_pack_b32_f16 v5, v12, v13
	;; [unrolled: 1-line block ×4, first 2 shown]
	v_add_f16_e32 v23, v9, v22
	v_sub_f16_e32 v13, v22, v9
	v_add_nc_u32_e32 v9, 0x134, v2
	v_add_nc_u32_e32 v12, 0x1ce, v2
	v_pack_b32_f16 v3, v3, v14
	v_add_f16_e32 v15, v15, v0
	v_add_f16_e32 v0, v37, v0
	v_pack_b32_f16 v6, v31, v28
	v_add_nc_u32_e32 v14, 0x268, v2
	global_store_dword v[16:17], v1, off
	global_store_dword v[18:19], v5, off
	;; [unrolled: 1-line block ×7, first 2 shown]
	v_mad_u64_u32 v[3:4], null, s2, v9, 0
	v_mad_u64_u32 v[5:6], null, s2, v12, 0
	v_sub_f16_e32 v28, v0, v8
	v_add_f16_e32 v31, v8, v0
	v_mov_b32_e32 v51, v45
	v_mad_u64_u32 v[7:8], null, s2, v14, 0
	v_sub_f16_e32 v11, v15, v33
	v_mad_u64_u32 v[9:10], null, s3, v9, v[4:5]
	v_lshlrev_b64 v[0:1], 2, v[50:51]
	v_add_f16_e32 v21, v33, v15
	v_pack_b32_f16 v15, v29, v11
	v_add_nc_u32_e32 v16, 0x302, v2
	v_mad_u64_u32 v[10:11], null, s3, v12, v[6:7]
	v_mov_b32_e32 v6, v8
	v_add_co_u32 v0, vcc_lo, v66, v0
	v_add_co_ci_u32_e32 v1, vcc_lo, v67, v1, vcc_lo
	v_mad_u64_u32 v[11:12], null, s2, v16, 0
	v_mov_b32_e32 v4, v9
	v_mad_u64_u32 v[8:9], null, s3, v14, v[6:7]
	v_add_nc_u32_e32 v14, 0x39c, v2
	global_store_dword v[0:1], v15, off
	v_lshlrev_b64 v[0:1], 2, v[3:4]
	v_mov_b32_e32 v2, v12
	v_mov_b32_e32 v6, v10
	v_mad_u64_u32 v[3:4], null, s2, v14, 0
	v_pack_b32_f16 v15, v36, v13
	v_add_co_u32 v0, vcc_lo, v66, v0
	v_add_co_ci_u32_e32 v1, vcc_lo, v67, v1, vcc_lo
	v_mad_u64_u32 v[9:10], null, s3, v16, v[2:3]
	v_mov_b32_e32 v2, v4
	v_lshlrev_b64 v[4:5], 2, v[5:6]
	v_lshlrev_b64 v[6:7], 2, v[7:8]
	v_mad_u64_u32 v[13:14], null, s3, v14, v[2:3]
	v_mov_b32_e32 v12, v9
	v_add_co_u32 v8, vcc_lo, v66, v4
	v_add_co_ci_u32_e32 v9, vcc_lo, v67, v5, vcc_lo
	v_lshlrev_b64 v[10:11], 2, v[11:12]
	v_mov_b32_e32 v4, v13
	v_add_co_u32 v5, vcc_lo, v66, v6
	v_add_co_ci_u32_e32 v6, vcc_lo, v67, v7, vcc_lo
	v_lshlrev_b64 v[2:3], 2, v[3:4]
	v_add_co_u32 v10, vcc_lo, v66, v10
	v_pack_b32_f16 v14, v35, v31
	v_add_co_ci_u32_e32 v11, vcc_lo, v67, v11, vcc_lo
	v_pack_b32_f16 v7, v32, v28
	v_add_co_u32 v2, vcc_lo, v66, v2
	v_pack_b32_f16 v4, v30, v23
	v_add_co_ci_u32_e32 v3, vcc_lo, v67, v3, vcc_lo
	v_pack_b32_f16 v12, v20, v21
	global_store_dword v[0:1], v15, off
	global_store_dword v[8:9], v14, off
	;; [unrolled: 1-line block ×5, first 2 shown]
.LBB0_22:
	s_endpgm
	.section	.rodata,"a",@progbits
	.p2align	6, 0x0
	.amdhsa_kernel fft_rtc_back_len1078_factors_2_11_7_7_wgs_231_tpt_77_halfLds_half_op_CI_CI_sbrr_dirReg
		.amdhsa_group_segment_fixed_size 0
		.amdhsa_private_segment_fixed_size 0
		.amdhsa_kernarg_size 104
		.amdhsa_user_sgpr_count 6
		.amdhsa_user_sgpr_private_segment_buffer 1
		.amdhsa_user_sgpr_dispatch_ptr 0
		.amdhsa_user_sgpr_queue_ptr 0
		.amdhsa_user_sgpr_kernarg_segment_ptr 1
		.amdhsa_user_sgpr_dispatch_id 0
		.amdhsa_user_sgpr_flat_scratch_init 0
		.amdhsa_user_sgpr_private_segment_size 0
		.amdhsa_wavefront_size32 1
		.amdhsa_uses_dynamic_stack 0
		.amdhsa_system_sgpr_private_segment_wavefront_offset 0
		.amdhsa_system_sgpr_workgroup_id_x 1
		.amdhsa_system_sgpr_workgroup_id_y 0
		.amdhsa_system_sgpr_workgroup_id_z 0
		.amdhsa_system_sgpr_workgroup_info 0
		.amdhsa_system_vgpr_workitem_id 0
		.amdhsa_next_free_vgpr 120
		.amdhsa_next_free_sgpr 31
		.amdhsa_reserve_vcc 1
		.amdhsa_reserve_flat_scratch 0
		.amdhsa_float_round_mode_32 0
		.amdhsa_float_round_mode_16_64 0
		.amdhsa_float_denorm_mode_32 3
		.amdhsa_float_denorm_mode_16_64 3
		.amdhsa_dx10_clamp 1
		.amdhsa_ieee_mode 1
		.amdhsa_fp16_overflow 0
		.amdhsa_workgroup_processor_mode 1
		.amdhsa_memory_ordered 1
		.amdhsa_forward_progress 0
		.amdhsa_shared_vgpr_count 0
		.amdhsa_exception_fp_ieee_invalid_op 0
		.amdhsa_exception_fp_denorm_src 0
		.amdhsa_exception_fp_ieee_div_zero 0
		.amdhsa_exception_fp_ieee_overflow 0
		.amdhsa_exception_fp_ieee_underflow 0
		.amdhsa_exception_fp_ieee_inexact 0
		.amdhsa_exception_int_div_zero 0
	.end_amdhsa_kernel
	.text
.Lfunc_end0:
	.size	fft_rtc_back_len1078_factors_2_11_7_7_wgs_231_tpt_77_halfLds_half_op_CI_CI_sbrr_dirReg, .Lfunc_end0-fft_rtc_back_len1078_factors_2_11_7_7_wgs_231_tpt_77_halfLds_half_op_CI_CI_sbrr_dirReg
                                        ; -- End function
	.section	.AMDGPU.csdata,"",@progbits
; Kernel info:
; codeLenInByte = 12908
; NumSgprs: 33
; NumVgprs: 120
; ScratchSize: 0
; MemoryBound: 0
; FloatMode: 240
; IeeeMode: 1
; LDSByteSize: 0 bytes/workgroup (compile time only)
; SGPRBlocks: 4
; VGPRBlocks: 14
; NumSGPRsForWavesPerEU: 33
; NumVGPRsForWavesPerEU: 120
; Occupancy: 8
; WaveLimiterHint : 1
; COMPUTE_PGM_RSRC2:SCRATCH_EN: 0
; COMPUTE_PGM_RSRC2:USER_SGPR: 6
; COMPUTE_PGM_RSRC2:TRAP_HANDLER: 0
; COMPUTE_PGM_RSRC2:TGID_X_EN: 1
; COMPUTE_PGM_RSRC2:TGID_Y_EN: 0
; COMPUTE_PGM_RSRC2:TGID_Z_EN: 0
; COMPUTE_PGM_RSRC2:TIDIG_COMP_CNT: 0
	.text
	.p2alignl 6, 3214868480
	.fill 48, 4, 3214868480
	.type	__hip_cuid_cd3e5676fbe03e9d,@object ; @__hip_cuid_cd3e5676fbe03e9d
	.section	.bss,"aw",@nobits
	.globl	__hip_cuid_cd3e5676fbe03e9d
__hip_cuid_cd3e5676fbe03e9d:
	.byte	0                               ; 0x0
	.size	__hip_cuid_cd3e5676fbe03e9d, 1

	.ident	"AMD clang version 19.0.0git (https://github.com/RadeonOpenCompute/llvm-project roc-6.4.0 25133 c7fe45cf4b819c5991fe208aaa96edf142730f1d)"
	.section	".note.GNU-stack","",@progbits
	.addrsig
	.addrsig_sym __hip_cuid_cd3e5676fbe03e9d
	.amdgpu_metadata
---
amdhsa.kernels:
  - .args:
      - .actual_access:  read_only
        .address_space:  global
        .offset:         0
        .size:           8
        .value_kind:     global_buffer
      - .offset:         8
        .size:           8
        .value_kind:     by_value
      - .actual_access:  read_only
        .address_space:  global
        .offset:         16
        .size:           8
        .value_kind:     global_buffer
      - .actual_access:  read_only
        .address_space:  global
        .offset:         24
        .size:           8
        .value_kind:     global_buffer
      - .actual_access:  read_only
        .address_space:  global
        .offset:         32
        .size:           8
        .value_kind:     global_buffer
      - .offset:         40
        .size:           8
        .value_kind:     by_value
      - .actual_access:  read_only
        .address_space:  global
        .offset:         48
        .size:           8
        .value_kind:     global_buffer
      - .actual_access:  read_only
        .address_space:  global
        .offset:         56
        .size:           8
        .value_kind:     global_buffer
      - .offset:         64
        .size:           4
        .value_kind:     by_value
      - .actual_access:  read_only
        .address_space:  global
        .offset:         72
        .size:           8
        .value_kind:     global_buffer
      - .actual_access:  read_only
        .address_space:  global
        .offset:         80
        .size:           8
        .value_kind:     global_buffer
      - .actual_access:  read_only
        .address_space:  global
        .offset:         88
        .size:           8
        .value_kind:     global_buffer
      - .actual_access:  write_only
        .address_space:  global
        .offset:         96
        .size:           8
        .value_kind:     global_buffer
    .group_segment_fixed_size: 0
    .kernarg_segment_align: 8
    .kernarg_segment_size: 104
    .language:       OpenCL C
    .language_version:
      - 2
      - 0
    .max_flat_workgroup_size: 231
    .name:           fft_rtc_back_len1078_factors_2_11_7_7_wgs_231_tpt_77_halfLds_half_op_CI_CI_sbrr_dirReg
    .private_segment_fixed_size: 0
    .sgpr_count:     33
    .sgpr_spill_count: 0
    .symbol:         fft_rtc_back_len1078_factors_2_11_7_7_wgs_231_tpt_77_halfLds_half_op_CI_CI_sbrr_dirReg.kd
    .uniform_work_group_size: 1
    .uses_dynamic_stack: false
    .vgpr_count:     120
    .vgpr_spill_count: 0
    .wavefront_size: 32
    .workgroup_processor_mode: 1
amdhsa.target:   amdgcn-amd-amdhsa--gfx1030
amdhsa.version:
  - 1
  - 2
...

	.end_amdgpu_metadata
